;; amdgpu-corpus repo=zjin-lcf/HeCBench kind=compiled arch=gfx1250 opt=O3
	.amdgcn_target "amdgcn-amd-amdhsa--gfx1250"
	.amdhsa_code_object_version 6
	.text
	.protected	_Z7set_BCsPdS_          ; -- Begin function _Z7set_BCsPdS_
	.globl	_Z7set_BCsPdS_
	.p2align	8
	.type	_Z7set_BCsPdS_,@function
_Z7set_BCsPdS_:                         ; @_Z7set_BCsPdS_
; %bb.0:
	s_load_b32 s4, s[0:1], 0x1c
	s_bfe_u32 s5, ttmp6, 0x4000c
	s_and_b32 s6, ttmp6, 15
	s_add_co_i32 s5, s5, 1
	s_getreg_b32 s7, hwreg(HW_REG_IB_STS2, 6, 4)
	s_mul_i32 s5, ttmp9, s5
	s_wait_xcnt 0x0
	s_load_b128 s[0:3], s[0:1], 0x0
	s_add_co_i32 s6, s6, s5
	s_wait_kmcnt 0x0
	s_and_b32 s4, s4, 0xffff
	s_cmp_eq_u32 s7, 0
	s_cselect_b32 s5, ttmp9, s6
	s_delay_alu instid0(SALU_CYCLE_1)
	v_mad_u32 v3, s5, s4, v0
	v_mov_b64_e32 v[0:1], 0
	s_mov_b32 s4, exec_lo
	s_clause 0x1
	global_load_b64 v[4:5], v3, s[2:3] offset:4120 scale_offset
	global_load_b64 v[6:7], v3, s[2:3] offset:2105352 scale_offset
	v_add_nc_u32_e32 v12, 1, v3
	s_clause 0x1
	global_store_b64 v3, v[0:1], s[0:1] offset:8 scale_offset
	global_store_b64 v3, v[0:1], s[0:1] offset:2105352 scale_offset
	v_mul_lo_u32 v2, 0x202, v12
	s_clause 0x1
	global_load_b64 v[8:9], v2, s[0:1] offset:4096 scale_offset
	global_load_b64 v[10:11], v2, s[0:1] offset:8 scale_offset
	s_wait_loadcnt 0x3
	v_xor_b32_e32 v5, 0x80000000, v5
	s_wait_loadcnt 0x2
	v_xor_b32_e32 v7, 0x80000000, v7
	s_wait_loadcnt 0x1
	v_add_f64_e64 v[8:9], -v[8:9], 2.0
	s_wait_loadcnt 0x0
	v_xor_b32_e32 v11, 0x80000000, v11
	s_clause 0x1
	global_store_b64 v3, v[4:5], s[2:3] offset:8 scale_offset
	global_store_b64 v3, v[6:7], s[2:3] offset:2109464 scale_offset
	s_clause 0x3
	global_store_b64 v2, v[10:11], s[0:1] scale_offset
	global_store_b64 v2, v[0:1], s[2:3] scale_offset
	global_store_b64 v2, v[8:9], s[0:1] offset:4104 scale_offset
	global_store_b64 v2, v[0:1], s[2:3] offset:4096 scale_offset
	s_wait_xcnt 0x0
	v_cmpx_eq_u32_e32 0x200, v12
	s_cbranch_execz .LBB0_2
; %bb.1:
	v_dual_mov_b32 v4, 0 :: v_dual_ashrrev_i32 v3, 31, v2
	s_clause 0x5
	global_load_b64 v[8:9], v4, s[2:3] offset:2109448
	global_load_b64 v[10:11], v4, s[0:1] offset:4096
	;; [unrolled: 1-line block ×6, first 2 shown]
	v_mov_b32_e32 v5, v4
	v_lshl_add_u64 v[2:3], v[2:3], 3, s[2:3]
	s_wait_loadcnt 0x5
	v_xor_b32_e32 v9, 0x80000000, v9
	s_wait_loadcnt 0x4
	v_add_f64_e64 v[10:11], -v[10:11], 2.0
	s_wait_loadcnt 0x3
	v_add_f64_e64 v[12:13], -v[12:13], 2.0
	s_wait_loadcnt 0x2
	v_xor_b32_e32 v7, 0x80000000, v7
	s_wait_loadcnt 0x1
	v_xor_b32_e32 v15, 0x80000000, v15
	;; [unrolled: 2-line block ×3, first 2 shown]
	s_clause 0x1
	global_store_b64 v4, v[0:1], s[0:1] offset:2105344
	global_store_b128 v4, v[4:7], s[0:1] offset:2109448
	s_wait_xcnt 0x0
	v_dual_mov_b32 v6, v14 :: v_dual_mov_b32 v7, v15
	s_clause 0x6
	global_store_b64 v4, v[16:17], s[0:1]
	global_store_b64 v4, v[0:1], s[2:3]
	global_store_b64 v4, v[10:11], s[0:1] offset:4104
	global_store_b128 v4, v[4:7], s[2:3] offset:4096
	global_store_b64 v4, v[8:9], s[2:3] offset:2113560
	global_store_b64 v4, v[0:1], s[2:3] offset:2109456
	;; [unrolled: 1-line block ×3, first 2 shown]
	global_store_b64 v[2:3], v[0:1], off offset:4104
.LBB0_2:
	s_endpgm
	.section	.rodata,"a",@progbits
	.p2align	6, 0x0
	.amdhsa_kernel _Z7set_BCsPdS_
		.amdhsa_group_segment_fixed_size 0
		.amdhsa_private_segment_fixed_size 0
		.amdhsa_kernarg_size 272
		.amdhsa_user_sgpr_count 2
		.amdhsa_user_sgpr_dispatch_ptr 0
		.amdhsa_user_sgpr_queue_ptr 0
		.amdhsa_user_sgpr_kernarg_segment_ptr 1
		.amdhsa_user_sgpr_dispatch_id 0
		.amdhsa_user_sgpr_kernarg_preload_length 0
		.amdhsa_user_sgpr_kernarg_preload_offset 0
		.amdhsa_user_sgpr_private_segment_size 0
		.amdhsa_wavefront_size32 1
		.amdhsa_uses_dynamic_stack 0
		.amdhsa_enable_private_segment 0
		.amdhsa_system_sgpr_workgroup_id_x 1
		.amdhsa_system_sgpr_workgroup_id_y 0
		.amdhsa_system_sgpr_workgroup_id_z 0
		.amdhsa_system_sgpr_workgroup_info 0
		.amdhsa_system_vgpr_workitem_id 0
		.amdhsa_next_free_vgpr 18
		.amdhsa_next_free_sgpr 8
		.amdhsa_named_barrier_count 0
		.amdhsa_reserve_vcc 0
		.amdhsa_float_round_mode_32 0
		.amdhsa_float_round_mode_16_64 0
		.amdhsa_float_denorm_mode_32 3
		.amdhsa_float_denorm_mode_16_64 3
		.amdhsa_fp16_overflow 0
		.amdhsa_memory_ordered 1
		.amdhsa_forward_progress 1
		.amdhsa_inst_pref_size 6
		.amdhsa_round_robin_scheduling 0
		.amdhsa_exception_fp_ieee_invalid_op 0
		.amdhsa_exception_fp_denorm_src 0
		.amdhsa_exception_fp_ieee_div_zero 0
		.amdhsa_exception_fp_ieee_overflow 0
		.amdhsa_exception_fp_ieee_underflow 0
		.amdhsa_exception_fp_ieee_inexact 0
		.amdhsa_exception_int_div_zero 0
	.end_amdhsa_kernel
	.text
.Lfunc_end0:
	.size	_Z7set_BCsPdS_, .Lfunc_end0-_Z7set_BCsPdS_
                                        ; -- End function
	.set _Z7set_BCsPdS_.num_vgpr, 18
	.set _Z7set_BCsPdS_.num_agpr, 0
	.set _Z7set_BCsPdS_.numbered_sgpr, 8
	.set _Z7set_BCsPdS_.num_named_barrier, 0
	.set _Z7set_BCsPdS_.private_seg_size, 0
	.set _Z7set_BCsPdS_.uses_vcc, 0
	.set _Z7set_BCsPdS_.uses_flat_scratch, 0
	.set _Z7set_BCsPdS_.has_dyn_sized_stack, 0
	.set _Z7set_BCsPdS_.has_recursion, 0
	.set _Z7set_BCsPdS_.has_indirect_call, 0
	.section	.AMDGPU.csdata,"",@progbits
; Kernel info:
; codeLenInByte = 644
; TotalNumSgprs: 8
; NumVgprs: 18
; ScratchSize: 0
; MemoryBound: 1
; FloatMode: 240
; IeeeMode: 1
; LDSByteSize: 0 bytes/workgroup (compile time only)
; SGPRBlocks: 0
; VGPRBlocks: 1
; NumSGPRsForWavesPerEU: 8
; NumVGPRsForWavesPerEU: 18
; NamedBarCnt: 0
; Occupancy: 16
; WaveLimiterHint : 1
; COMPUTE_PGM_RSRC2:SCRATCH_EN: 0
; COMPUTE_PGM_RSRC2:USER_SGPR: 2
; COMPUTE_PGM_RSRC2:TRAP_HANDLER: 0
; COMPUTE_PGM_RSRC2:TGID_X_EN: 1
; COMPUTE_PGM_RSRC2:TGID_Y_EN: 0
; COMPUTE_PGM_RSRC2:TGID_Z_EN: 0
; COMPUTE_PGM_RSRC2:TIDIG_COMP_CNT: 0
	.text
	.protected	_Z11calculate_FdPKdS0_Pd ; -- Begin function _Z11calculate_FdPKdS0_Pd
	.globl	_Z11calculate_FdPKdS0_Pd
	.p2align	8
	.type	_Z11calculate_FdPKdS0_Pd,@function
_Z11calculate_FdPKdS0_Pd:               ; @_Z11calculate_FdPKdS0_Pd
; %bb.0:
	s_load_b32 s2, s[0:1], 0x2c
	s_bfe_u32 s4, ttmp6, 0x4000c
	s_bfe_u32 s5, ttmp6, 0x40010
	s_add_co_i32 s4, s4, 1
	s_add_co_i32 s5, s5, 1
	s_and_b32 s3, ttmp6, 15
	s_bfe_u32 s6, ttmp6, 0x40004
	s_mul_i32 s4, ttmp9, s4
	s_mul_i32 s5, ttmp7, s5
	s_getreg_b32 s7, hwreg(HW_REG_IB_STS2, 6, 4)
	s_add_co_i32 s4, s3, s4
	s_add_co_i32 s6, s6, s5
	v_bfe_u32 v1, v0, 10, 10
	v_and_b32_e32 v0, 0x3ff, v0
                                        ; implicit-def: $vgpr2_vgpr3
	s_wait_kmcnt 0x0
	s_lshr_b32 s3, s2, 16
	s_and_b32 s5, s2, 0xffff
	s_cmp_eq_u32 s7, 0
	s_cselect_b32 s2, ttmp7, s6
	s_cselect_b32 s4, ttmp9, s4
	v_mad_u32 v5, s2, s3, v1
	s_load_b64 s[2:3], s[0:1], 0x8
	v_mad_u32 v4, s4, s5, v0
	s_mov_b32 s4, exec_lo
                                        ; implicit-def: $vgpr0_vgpr1
	s_delay_alu instid0(VALU_DEP_2) | instskip(NEXT) | instid1(VALU_DEP_1)
	v_add_nc_u32_e32 v6, 1, v5
	v_cmpx_ne_u32_e32 0x200, v6
	s_xor_b32 s4, exec_lo, s4
	s_cbranch_execnz .LBB1_3
; %bb.1:
	s_or_saveexec_b32 s4, s4
	s_wait_xcnt 0x0
	s_load_b64 s[0:1], s[0:1], 0x18
	s_xor_b32 exec_lo, exec_lo, s4
	s_cbranch_execnz .LBB1_4
.LBB1_2:
	s_or_b32 exec_lo, exec_lo, s4
	s_wait_kmcnt 0x0
	v_lshl_add_u64 v[2:3], v[2:3], 3, s[0:1]
	global_store_b64 v[2:3], v[0:1], off
	s_endpgm
.LBB1_3:
	v_mul_lo_u32 v0, 0x202, v6
	s_delay_alu instid0(VALU_DEP_4) | instskip(SKIP_1) | instid1(VALU_DEP_2)
	v_add_nc_u32_e32 v3, 1, v4
	v_mul_lo_u32 v5, 0x202, v5
	v_dual_add_nc_u32 v24, v0, v4 :: v_dual_add_nc_u32 v2, v0, v3
	s_delay_alu instid0(VALU_DEP_2) | instskip(NEXT) | instid1(VALU_DEP_2)
	v_add_nc_u32_e32 v20, 0x404, v5
	v_add_nc_u32_e32 v8, 2, v24
	s_wait_kmcnt 0x0
	s_clause 0x1
	global_load_b64 v[0:1], v2, s[2:3] scale_offset
	global_load_b64 v[6:7], v8, s[2:3] scale_offset
	v_dual_add_nc_u32 v25, v20, v3 :: v_dual_add_nc_u32 v3, v5, v3
	s_clause 0x2
	global_load_b64 v[8:9], v25, s[2:3] scale_offset
	global_load_b64 v[10:11], v24, s[2:3] scale_offset
	;; [unrolled: 1-line block ×3, first 2 shown]
	s_clause 0x1
	s_load_b64 s[6:7], s[0:1], 0x10
	s_load_b64 s[8:9], s[0:1], 0x0
	s_wait_kmcnt 0x0
	global_load_b64 v[14:15], v2, s[6:7] scale_offset
	s_wait_loadcnt 0x4
	v_add_f64_e32 v[16:17], v[0:1], v[6:7]
	v_add_f64_e64 v[18:19], v[0:1], -v[6:7]
	v_fmac_f64_e32 v[6:7], -2.0, v[0:1]
	v_add_nc_u32_e32 v3, v20, v4
	s_wait_loadcnt 0x3
	v_add_f64_e64 v[26:27], v[0:1], -v[8:9]
	s_wait_loadcnt 0x1
	v_add_f64_e32 v[32:33], v[0:1], v[12:13]
	s_delay_alu instid0(VALU_DEP_4)
	v_add_f64_e32 v[6:7], v[6:7], v[10:11]
	s_clause 0x2
	global_load_b64 v[4:5], v24, s[6:7] scale_offset
	global_load_b64 v[20:21], v3, s[6:7] scale_offset
	;; [unrolled: 1-line block ×3, first 2 shown]
	s_wait_xcnt 0x0
	v_dual_add_f64 v[24:25], v[0:1], v[8:9] :: v_dual_ashrrev_i32 v3, 31, v2
	v_fmac_f64_e32 v[8:9], -2.0, v[0:1]
	v_mul_f64_e32 v[36:37], v[32:33], v[32:33]
	v_ldexp_f64 v[6:7], v[6:7], 18
	s_delay_alu instid0(VALU_DEP_3) | instskip(SKIP_1) | instid1(VALU_DEP_2)
	v_add_f64_e32 v[8:9], v[8:9], v[12:13]
	v_add_f64_e64 v[12:13], v[12:13], -v[0:1]
	v_fmamk_f64 v[6:7], v[8:9], 0x41100000, v[6:7]
	s_delay_alu instid0(VALU_DEP_2) | instskip(NEXT) | instid1(VALU_DEP_2)
	v_mul_f64_e64 v[12:13], v[12:13], |v[32:33]|
	v_div_scale_f64 v[8:9], null, 0x408f4000, 0x408f4000, v[6:7]
	s_delay_alu instid0(VALU_DEP_2) | instskip(NEXT) | instid1(VALU_DEP_2)
	v_fma_f64 v[12:13], v[26:27], |v[24:25]|, -v[12:13]
	v_rcp_f64_e32 v[28:29], v[8:9]
	v_nop
	s_delay_alu instid0(TRANS32_DEP_1) | instskip(NEXT) | instid1(VALU_DEP_1)
	v_fma_f64 v[30:31], -v[8:9], v[28:29], 1.0
	v_fmac_f64_e32 v[28:29], v[28:29], v[30:31]
	s_delay_alu instid0(VALU_DEP_1) | instskip(NEXT) | instid1(VALU_DEP_1)
	v_fma_f64 v[30:31], -v[8:9], v[28:29], 1.0
	v_fmac_f64_e32 v[28:29], v[28:29], v[30:31]
	v_div_scale_f64 v[30:31], vcc_lo, v[6:7], 0x408f4000, v[6:7]
	s_delay_alu instid0(VALU_DEP_1) | instskip(NEXT) | instid1(VALU_DEP_1)
	v_mul_f64_e32 v[34:35], v[30:31], v[28:29]
	v_fma_f64 v[8:9], -v[8:9], v[34:35], v[30:31]
	v_fma_f64 v[30:31], v[24:25], v[24:25], -v[36:37]
	s_wait_loadcnt 0x1
	v_add_f64_e32 v[4:5], v[4:5], v[20:21]
	v_add_f64_e32 v[20:21], v[0:1], v[10:11]
	v_add_f64_e64 v[10:11], v[10:11], -v[0:1]
	s_wait_loadcnt 0x0
	v_add_f64_e32 v[14:15], v[14:15], v[22:23]
	v_div_fmas_f64 v[8:9], v[8:9], v[28:29], v[34:35]
	v_fmac_f64_e32 v[30:31], 0x3feccccccccccccd, v[12:13]
	v_mul_f64_e32 v[20:21], v[20:21], v[4:5]
	v_mul_f64_e64 v[4:5], v[10:11], |v[4:5]|
	s_delay_alu instid0(VALU_DEP_4) | instskip(NEXT) | instid1(VALU_DEP_3)
	v_div_fixup_f64 v[6:7], v[8:9], 0x408f4000, v[6:7]
	v_fma_f64 v[10:11], v[16:17], v[14:15], -v[20:21]
	s_delay_alu instid0(VALU_DEP_3) | instskip(NEXT) | instid1(VALU_DEP_3)
	v_fma_f64 v[4:5], v[18:19], |v[14:15]|, -v[4:5]
	v_fmac_f64_e32 v[6:7], 0xc0600000, v[30:31]
	s_delay_alu instid0(VALU_DEP_2) | instskip(NEXT) | instid1(VALU_DEP_1)
	v_fmac_f64_e32 v[10:11], 0x3feccccccccccccd, v[4:5]
	v_fmac_f64_e32 v[6:7], 0xc0600000, v[10:11]
	s_delay_alu instid0(VALU_DEP_1) | instskip(NEXT) | instid1(VALU_DEP_1)
	v_add_f64_e32 v[4:5], 0, v[6:7]
	v_fmac_f64_e32 v[0:1], s[8:9], v[4:5]
                                        ; implicit-def: $vgpr4
	s_or_saveexec_b32 s4, s4
	s_load_b64 s[0:1], s[0:1], 0x18
	s_xor_b32 exec_lo, exec_lo, s4
	s_cbranch_execz .LBB1_2
.LBB1_4:
	s_wait_kmcnt 0x0
	s_clause 0x1
	global_load_b64 v[6:7], v4, s[2:3] offset:8 scale_offset
	global_load_b64 v[0:1], v4, s[2:3] offset:2105352 scale_offset
	v_add_nc_u32_e32 v2, 0x40401, v4
	s_delay_alu instid0(VALU_DEP_1)
	v_ashrrev_i32_e32 v3, 31, v2
	s_wait_loadcnt 0x1
	global_store_b64 v4, v[6:7], s[0:1] offset:8 scale_offset
	s_wait_xcnt 0x0
	s_or_b32 exec_lo, exec_lo, s4
	v_lshl_add_u64 v[2:3], v[2:3], 3, s[0:1]
	s_wait_loadcnt 0x0
	global_store_b64 v[2:3], v[0:1], off
	s_endpgm
	.section	.rodata,"a",@progbits
	.p2align	6, 0x0
	.amdhsa_kernel _Z11calculate_FdPKdS0_Pd
		.amdhsa_group_segment_fixed_size 0
		.amdhsa_private_segment_fixed_size 0
		.amdhsa_kernarg_size 288
		.amdhsa_user_sgpr_count 2
		.amdhsa_user_sgpr_dispatch_ptr 0
		.amdhsa_user_sgpr_queue_ptr 0
		.amdhsa_user_sgpr_kernarg_segment_ptr 1
		.amdhsa_user_sgpr_dispatch_id 0
		.amdhsa_user_sgpr_kernarg_preload_length 0
		.amdhsa_user_sgpr_kernarg_preload_offset 0
		.amdhsa_user_sgpr_private_segment_size 0
		.amdhsa_wavefront_size32 1
		.amdhsa_uses_dynamic_stack 0
		.amdhsa_enable_private_segment 0
		.amdhsa_system_sgpr_workgroup_id_x 1
		.amdhsa_system_sgpr_workgroup_id_y 1
		.amdhsa_system_sgpr_workgroup_id_z 0
		.amdhsa_system_sgpr_workgroup_info 0
		.amdhsa_system_vgpr_workitem_id 1
		.amdhsa_next_free_vgpr 38
		.amdhsa_next_free_sgpr 10
		.amdhsa_named_barrier_count 0
		.amdhsa_reserve_vcc 1
		.amdhsa_float_round_mode_32 0
		.amdhsa_float_round_mode_16_64 0
		.amdhsa_float_denorm_mode_32 3
		.amdhsa_float_denorm_mode_16_64 3
		.amdhsa_fp16_overflow 0
		.amdhsa_memory_ordered 1
		.amdhsa_forward_progress 1
		.amdhsa_inst_pref_size 8
		.amdhsa_round_robin_scheduling 0
		.amdhsa_exception_fp_ieee_invalid_op 0
		.amdhsa_exception_fp_denorm_src 0
		.amdhsa_exception_fp_ieee_div_zero 0
		.amdhsa_exception_fp_ieee_overflow 0
		.amdhsa_exception_fp_ieee_underflow 0
		.amdhsa_exception_fp_ieee_inexact 0
		.amdhsa_exception_int_div_zero 0
	.end_amdhsa_kernel
	.text
.Lfunc_end1:
	.size	_Z11calculate_FdPKdS0_Pd, .Lfunc_end1-_Z11calculate_FdPKdS0_Pd
                                        ; -- End function
	.set _Z11calculate_FdPKdS0_Pd.num_vgpr, 38
	.set _Z11calculate_FdPKdS0_Pd.num_agpr, 0
	.set _Z11calculate_FdPKdS0_Pd.numbered_sgpr, 10
	.set _Z11calculate_FdPKdS0_Pd.num_named_barrier, 0
	.set _Z11calculate_FdPKdS0_Pd.private_seg_size, 0
	.set _Z11calculate_FdPKdS0_Pd.uses_vcc, 1
	.set _Z11calculate_FdPKdS0_Pd.uses_flat_scratch, 0
	.set _Z11calculate_FdPKdS0_Pd.has_dyn_sized_stack, 0
	.set _Z11calculate_FdPKdS0_Pd.has_recursion, 0
	.set _Z11calculate_FdPKdS0_Pd.has_indirect_call, 0
	.section	.AMDGPU.csdata,"",@progbits
; Kernel info:
; codeLenInByte = 920
; TotalNumSgprs: 12
; NumVgprs: 38
; ScratchSize: 0
; MemoryBound: 0
; FloatMode: 240
; IeeeMode: 1
; LDSByteSize: 0 bytes/workgroup (compile time only)
; SGPRBlocks: 0
; VGPRBlocks: 2
; NumSGPRsForWavesPerEU: 12
; NumVGPRsForWavesPerEU: 38
; NamedBarCnt: 0
; Occupancy: 16
; WaveLimiterHint : 0
; COMPUTE_PGM_RSRC2:SCRATCH_EN: 0
; COMPUTE_PGM_RSRC2:USER_SGPR: 2
; COMPUTE_PGM_RSRC2:TRAP_HANDLER: 0
; COMPUTE_PGM_RSRC2:TGID_X_EN: 1
; COMPUTE_PGM_RSRC2:TGID_Y_EN: 1
; COMPUTE_PGM_RSRC2:TGID_Z_EN: 0
; COMPUTE_PGM_RSRC2:TIDIG_COMP_CNT: 1
	.text
	.protected	_Z11calculate_GdPKdS0_Pd ; -- Begin function _Z11calculate_GdPKdS0_Pd
	.globl	_Z11calculate_GdPKdS0_Pd
	.p2align	8
	.type	_Z11calculate_GdPKdS0_Pd,@function
_Z11calculate_GdPKdS0_Pd:               ; @_Z11calculate_GdPKdS0_Pd
; %bb.0:
	s_load_b32 s2, s[0:1], 0x2c
	s_bfe_u32 s4, ttmp6, 0x4000c
	s_bfe_u32 s5, ttmp6, 0x40010
	s_add_co_i32 s4, s4, 1
	s_add_co_i32 s5, s5, 1
	s_and_b32 s3, ttmp6, 15
	s_bfe_u32 s6, ttmp6, 0x40004
	s_mul_i32 s4, ttmp9, s4
	s_mul_i32 s5, ttmp7, s5
	s_getreg_b32 s7, hwreg(HW_REG_IB_STS2, 6, 4)
	v_bfe_u32 v1, v0, 10, 10
	s_add_co_i32 s3, s3, s4
	s_add_co_i32 s6, s6, s5
	v_and_b32_e32 v0, 0x3ff, v0
                                        ; implicit-def: $vgpr2_vgpr3
	s_wait_kmcnt 0x0
	s_lshr_b32 s4, s2, 16
	s_and_b32 s2, s2, 0xffff
	s_cmp_eq_u32 s7, 0
	s_cselect_b32 s5, ttmp7, s6
	s_cselect_b32 s3, ttmp9, s3
	v_mad_u32 v1, s5, s4, v1
	v_mad_u32 v5, s3, s2, v0
	s_load_b64 s[2:3], s[0:1], 0x10
	s_mov_b32 s4, exec_lo
	s_delay_alu instid0(VALU_DEP_2) | instskip(NEXT) | instid1(VALU_DEP_2)
	v_mul_lo_u32 v4, 0x202, v1
	v_add_nc_u32_e32 v6, 1, v5
                                        ; implicit-def: $vgpr0_vgpr1
	s_delay_alu instid0(VALU_DEP_1)
	v_cmpx_ne_u32_e32 0x200, v6
	s_xor_b32 s8, exec_lo, s4
	s_cbranch_execnz .LBB2_3
; %bb.1:
	s_or_saveexec_b32 s4, s8
	s_wait_xcnt 0x0
	s_load_b64 s[0:1], s[0:1], 0x18
	s_xor_b32 exec_lo, exec_lo, s4
	s_cbranch_execnz .LBB2_4
.LBB2_2:
	s_or_b32 exec_lo, exec_lo, s4
	s_wait_kmcnt 0x0
	v_lshl_add_u64 v[2:3], v[2:3], 3, s[0:1]
	global_store_b64 v[2:3], v[0:1], off
	s_endpgm
.LBB2_3:
	s_delay_alu instid0(VALU_DEP_3) | instskip(SKIP_2) | instid1(VALU_DEP_2)
	v_add_nc_u32_e32 v3, 0x202, v4
	v_add3_u32 v7, v5, v4, 0x405
	s_load_b128 s[4:7], s[0:1], 0x0
	v_dual_add_nc_u32 v18, v4, v6 :: v_dual_add_nc_u32 v2, v3, v6
	s_wait_kmcnt 0x0
	s_clause 0x1
	global_load_b64 v[8:9], v7, s[2:3] scale_offset
	global_load_b64 v[0:1], v2, s[2:3] scale_offset
	s_wait_xcnt 0x1
	v_add_nc_u32_e32 v7, 2, v5
	s_delay_alu instid0(VALU_DEP_1)
	v_dual_add_nc_u32 v28, v3, v7 :: v_dual_add_nc_u32 v14, v4, v7
	v_add_nc_u32_e32 v3, v3, v5
	global_load_b64 v[6:7], v28, s[2:3] scale_offset
	global_load_b64 v[10:11], v14, s[6:7] scale_offset
	s_clause 0x1
	global_load_b64 v[12:13], v18, s[2:3] scale_offset
	global_load_b64 v[4:5], v3, s[2:3] scale_offset
	s_clause 0x2
	global_load_b64 v[18:19], v18, s[6:7] scale_offset
	global_load_b64 v[24:25], v2, s[6:7] scale_offset
	;; [unrolled: 1-line block ×3, first 2 shown]
	s_wait_loadcnt 0x7
	s_wait_xcnt 0x3
	v_dual_add_f64 v[14:15], v[0:1], v[8:9] :: v_dual_ashrrev_i32 v3, 31, v2
	v_add_f64_e64 v[16:17], v[0:1], -v[8:9]
	v_fmac_f64_e32 v[8:9], -2.0, v[0:1]
	s_wait_loadcnt 0x6
	v_add_f64_e32 v[20:21], v[0:1], v[6:7]
	v_add_f64_e64 v[22:23], v[0:1], -v[6:7]
	v_fmac_f64_e32 v[6:7], -2.0, v[0:1]
	s_wait_loadcnt 0x3
	v_add_f64_e32 v[32:33], v[0:1], v[4:5]
	s_wait_loadcnt 0x2
	v_add_f64_e32 v[10:11], v[18:19], v[10:11]
	v_add_f64_e32 v[18:19], v[0:1], v[12:13]
	;; [unrolled: 1-line block ×3, first 2 shown]
	v_add_f64_e64 v[12:13], v[12:13], -v[0:1]
	v_add_f64_e32 v[6:7], v[6:7], v[4:5]
	v_add_f64_e64 v[4:5], v[4:5], -v[0:1]
	v_mul_f64_e32 v[36:37], v[32:33], v[32:33]
	v_mul_f64_e32 v[18:19], v[10:11], v[18:19]
	v_ldexp_f64 v[8:9], v[8:9], 18
	v_mul_f64_e64 v[10:11], |v[10:11]|, v[12:13]
	v_mul_f64_e64 v[4:5], v[4:5], |v[32:33]|
	s_delay_alu instid0(VALU_DEP_3) | instskip(NEXT) | instid1(VALU_DEP_1)
	v_fmamk_f64 v[6:7], v[6:7], 0x41100000, v[8:9]
	v_div_scale_f64 v[8:9], null, 0x408f4000, 0x408f4000, v[6:7]
	s_delay_alu instid0(VALU_DEP_3) | instskip(SKIP_1) | instid1(VALU_DEP_2)
	v_fma_f64 v[4:5], v[22:23], |v[20:21]|, -v[4:5]
	s_wait_xcnt 0x0
	v_rcp_f64_e32 v[28:29], v[8:9]
	v_nop
	s_delay_alu instid0(TRANS32_DEP_1) | instskip(NEXT) | instid1(VALU_DEP_1)
	v_fma_f64 v[30:31], -v[8:9], v[28:29], 1.0
	v_fmac_f64_e32 v[28:29], v[28:29], v[30:31]
	s_delay_alu instid0(VALU_DEP_1) | instskip(NEXT) | instid1(VALU_DEP_1)
	v_fma_f64 v[30:31], -v[8:9], v[28:29], 1.0
	v_fmac_f64_e32 v[28:29], v[28:29], v[30:31]
	v_div_scale_f64 v[30:31], vcc_lo, v[6:7], 0x408f4000, v[6:7]
	s_delay_alu instid0(VALU_DEP_1) | instskip(NEXT) | instid1(VALU_DEP_1)
	v_mul_f64_e32 v[34:35], v[30:31], v[28:29]
	v_fma_f64 v[8:9], -v[8:9], v[34:35], v[30:31]
	v_fma_f64 v[30:31], v[20:21], v[20:21], -v[36:37]
	s_wait_loadcnt 0x0
	v_add_f64_e32 v[20:21], v[24:25], v[26:27]
	s_delay_alu instid0(VALU_DEP_3) | instskip(NEXT) | instid1(VALU_DEP_3)
	v_div_fmas_f64 v[8:9], v[8:9], v[28:29], v[34:35]
	v_fmac_f64_e32 v[30:31], 0x3feccccccccccccd, v[4:5]
	s_delay_alu instid0(VALU_DEP_3) | instskip(SKIP_1) | instid1(VALU_DEP_4)
	v_fma_f64 v[4:5], v[20:21], v[14:15], -v[18:19]
	v_fma_f64 v[10:11], |v[20:21]|, v[16:17], -v[10:11]
	v_div_fixup_f64 v[6:7], v[8:9], 0x408f4000, v[6:7]
	s_delay_alu instid0(VALU_DEP_2) | instskip(NEXT) | instid1(VALU_DEP_2)
	v_fmac_f64_e32 v[4:5], 0x3feccccccccccccd, v[10:11]
	v_fmac_f64_e32 v[6:7], 0xc0600000, v[30:31]
	s_delay_alu instid0(VALU_DEP_1) | instskip(NEXT) | instid1(VALU_DEP_1)
	v_fmac_f64_e32 v[6:7], 0xc0600000, v[4:5]
	v_add_f64_e32 v[4:5], 0, v[6:7]
	s_delay_alu instid0(VALU_DEP_1)
	v_fmac_f64_e32 v[0:1], s[4:5], v[4:5]
                                        ; implicit-def: $vgpr4
	s_or_saveexec_b32 s4, s8
	s_load_b64 s[0:1], s[0:1], 0x18
	s_xor_b32 exec_lo, exec_lo, s4
	s_cbranch_execz .LBB2_2
.LBB2_4:
	s_wait_kmcnt 0x0
	s_clause 0x1
	global_load_b64 v[6:7], v4, s[2:3] offset:4112 scale_offset
	global_load_b64 v[0:1], v4, s[2:3] offset:8208 scale_offset
	v_add_nc_u32_e32 v2, 0x402, v4
	s_delay_alu instid0(VALU_DEP_1)
	v_ashrrev_i32_e32 v3, 31, v2
	s_wait_loadcnt 0x1
	global_store_b64 v4, v[6:7], s[0:1] offset:4112 scale_offset
	s_wait_xcnt 0x0
	s_or_b32 exec_lo, exec_lo, s4
	v_lshl_add_u64 v[2:3], v[2:3], 3, s[0:1]
	s_wait_loadcnt 0x0
	global_store_b64 v[2:3], v[0:1], off
	s_endpgm
	.section	.rodata,"a",@progbits
	.p2align	6, 0x0
	.amdhsa_kernel _Z11calculate_GdPKdS0_Pd
		.amdhsa_group_segment_fixed_size 0
		.amdhsa_private_segment_fixed_size 0
		.amdhsa_kernarg_size 288
		.amdhsa_user_sgpr_count 2
		.amdhsa_user_sgpr_dispatch_ptr 0
		.amdhsa_user_sgpr_queue_ptr 0
		.amdhsa_user_sgpr_kernarg_segment_ptr 1
		.amdhsa_user_sgpr_dispatch_id 0
		.amdhsa_user_sgpr_kernarg_preload_length 0
		.amdhsa_user_sgpr_kernarg_preload_offset 0
		.amdhsa_user_sgpr_private_segment_size 0
		.amdhsa_wavefront_size32 1
		.amdhsa_uses_dynamic_stack 0
		.amdhsa_enable_private_segment 0
		.amdhsa_system_sgpr_workgroup_id_x 1
		.amdhsa_system_sgpr_workgroup_id_y 1
		.amdhsa_system_sgpr_workgroup_id_z 0
		.amdhsa_system_sgpr_workgroup_info 0
		.amdhsa_system_vgpr_workitem_id 1
		.amdhsa_next_free_vgpr 38
		.amdhsa_next_free_sgpr 9
		.amdhsa_named_barrier_count 0
		.amdhsa_reserve_vcc 1
		.amdhsa_float_round_mode_32 0
		.amdhsa_float_round_mode_16_64 0
		.amdhsa_float_denorm_mode_32 3
		.amdhsa_float_denorm_mode_16_64 3
		.amdhsa_fp16_overflow 0
		.amdhsa_memory_ordered 1
		.amdhsa_forward_progress 1
		.amdhsa_inst_pref_size 8
		.amdhsa_round_robin_scheduling 0
		.amdhsa_exception_fp_ieee_invalid_op 0
		.amdhsa_exception_fp_denorm_src 0
		.amdhsa_exception_fp_ieee_div_zero 0
		.amdhsa_exception_fp_ieee_overflow 0
		.amdhsa_exception_fp_ieee_underflow 0
		.amdhsa_exception_fp_ieee_inexact 0
		.amdhsa_exception_int_div_zero 0
	.end_amdhsa_kernel
	.text
.Lfunc_end2:
	.size	_Z11calculate_GdPKdS0_Pd, .Lfunc_end2-_Z11calculate_GdPKdS0_Pd
                                        ; -- End function
	.set _Z11calculate_GdPKdS0_Pd.num_vgpr, 38
	.set _Z11calculate_GdPKdS0_Pd.num_agpr, 0
	.set _Z11calculate_GdPKdS0_Pd.numbered_sgpr, 9
	.set _Z11calculate_GdPKdS0_Pd.num_named_barrier, 0
	.set _Z11calculate_GdPKdS0_Pd.private_seg_size, 0
	.set _Z11calculate_GdPKdS0_Pd.uses_vcc, 1
	.set _Z11calculate_GdPKdS0_Pd.uses_flat_scratch, 0
	.set _Z11calculate_GdPKdS0_Pd.has_dyn_sized_stack, 0
	.set _Z11calculate_GdPKdS0_Pd.has_recursion, 0
	.set _Z11calculate_GdPKdS0_Pd.has_indirect_call, 0
	.section	.AMDGPU.csdata,"",@progbits
; Kernel info:
; codeLenInByte = 908
; TotalNumSgprs: 11
; NumVgprs: 38
; ScratchSize: 0
; MemoryBound: 0
; FloatMode: 240
; IeeeMode: 1
; LDSByteSize: 0 bytes/workgroup (compile time only)
; SGPRBlocks: 0
; VGPRBlocks: 2
; NumSGPRsForWavesPerEU: 11
; NumVGPRsForWavesPerEU: 38
; NamedBarCnt: 0
; Occupancy: 16
; WaveLimiterHint : 0
; COMPUTE_PGM_RSRC2:SCRATCH_EN: 0
; COMPUTE_PGM_RSRC2:USER_SGPR: 2
; COMPUTE_PGM_RSRC2:TRAP_HANDLER: 0
; COMPUTE_PGM_RSRC2:TGID_X_EN: 1
; COMPUTE_PGM_RSRC2:TGID_Y_EN: 1
; COMPUTE_PGM_RSRC2:TGID_Z_EN: 0
; COMPUTE_PGM_RSRC2:TIDIG_COMP_CNT: 1
	.text
	.protected	_Z12sum_pressurePKdS0_Pd ; -- Begin function _Z12sum_pressurePKdS0_Pd
	.globl	_Z12sum_pressurePKdS0_Pd
	.p2align	8
	.type	_Z12sum_pressurePKdS0_Pd,@function
_Z12sum_pressurePKdS0_Pd:               ; @_Z12sum_pressurePKdS0_Pd
; %bb.0:
	s_load_b32 s2, s[0:1], 0x24
	s_bfe_u32 s4, ttmp6, 0x4000c
	s_bfe_u32 s5, ttmp6, 0x40010
	s_add_co_i32 s4, s4, 1
	s_add_co_i32 s5, s5, 1
	s_and_b32 s3, ttmp6, 15
	s_bfe_u32 s6, ttmp6, 0x40004
	s_mul_i32 s4, ttmp9, s4
	s_mul_i32 s5, ttmp7, s5
	s_getreg_b32 s7, hwreg(HW_REG_IB_STS2, 6, 4)
	v_bfe_u32 v1, v0, 10, 10
	s_add_co_i32 s3, s3, s4
	s_add_co_i32 s6, s6, s5
	s_load_b128 s[8:11], s[0:1], 0x0
	s_wait_kmcnt 0x0
	s_lshr_b32 s4, s2, 16
	s_and_b32 s5, s2, 0xffff
	s_cmp_eq_u32 s7, 0
	s_cselect_b32 s2, ttmp7, s6
	s_cselect_b32 s3, ttmp9, s3
	v_mad_u32 v2, s2, s4, v1
	v_and_b32_e32 v1, 0x3ff, v0
	s_load_b32 s4, s[0:1], 0x1c
	s_delay_alu instid0(VALU_DEP_1) | instskip(SKIP_1) | instid1(VALU_DEP_3)
	v_mad_u32 v0, s3, s5, v1
	s_mov_b32 s5, exec_lo
	v_mul_lo_u32 v2, 0x102, v2
	s_delay_alu instid0(VALU_DEP_1)
	v_add3_u32 v0, v0, v2, 0x103
	s_clause 0x1
	global_load_b64 v[2:3], v0, s[10:11] scale_offset
	global_load_b64 v[4:5], v0, s[8:9] scale_offset
	s_wait_loadcnt 0x1
	s_wait_xcnt 0x0
	v_dual_mul_f64 v[2:3], v[2:3], v[2:3] :: v_dual_lshlrev_b32 v0, 3, v1
	s_wait_loadcnt 0x0
	s_delay_alu instid0(VALU_DEP_1)
	v_fmac_f64_e32 v[2:3], v[4:5], v[4:5]
	ds_store_b64 v0, v[2:3]
	s_wait_dscnt 0x0
	s_barrier_signal -1
	s_barrier_wait -1
	v_cmpx_gt_u32_e32 64, v1
	s_cbranch_execz .LBB3_2
; %bb.1:
	ds_load_2addr_stride64_b64 v[2:5], v0 offset1:1
	s_wait_dscnt 0x0
	v_add_f64_e32 v[2:3], v[4:5], v[2:3]
	ds_store_b64 v0, v[2:3]
.LBB3_2:
	s_or_b32 exec_lo, exec_lo, s5
	s_delay_alu instid0(SALU_CYCLE_1)
	s_mov_b32 s5, exec_lo
	s_wait_dscnt 0x0
	s_barrier_signal -1
	s_barrier_wait -1
	v_cmpx_gt_u32_e32 32, v1
	s_cbranch_execz .LBB3_4
; %bb.3:
	ds_load_2addr_b64 v[2:5], v0 offset1:32
	s_wait_dscnt 0x0
	v_add_f64_e32 v[2:3], v[4:5], v[2:3]
	ds_store_b64 v0, v[2:3]
.LBB3_4:
	s_or_b32 exec_lo, exec_lo, s5
	s_delay_alu instid0(SALU_CYCLE_1)
	s_mov_b32 s5, exec_lo
	s_wait_dscnt 0x0
	s_barrier_signal -1
	s_barrier_wait -1
	v_cmpx_gt_u32_e32 16, v1
	s_cbranch_execz .LBB3_6
; %bb.5:
	ds_load_2addr_b64 v[2:5], v0 offset1:16
	s_wait_dscnt 0x0
	v_add_f64_e32 v[2:3], v[4:5], v[2:3]
	ds_store_b64 v0, v[2:3]
.LBB3_6:
	;; [unrolled: 14-line block ×5, first 2 shown]
	s_or_b32 exec_lo, exec_lo, s5
	v_cmp_eq_u32_e32 vcc_lo, 0, v1
	s_wait_dscnt 0x0
	s_barrier_signal -1
	s_barrier_wait -1
	s_and_saveexec_b32 s5, vcc_lo
	s_cbranch_execz .LBB3_14
; %bb.13:
	ds_load_2addr_b64 v[2:5], v0 offset1:1
	s_wait_dscnt 0x0
	v_add_f64_e32 v[2:3], v[4:5], v[2:3]
	ds_store_b64 v0, v[2:3]
.LBB3_14:
	s_or_b32 exec_lo, exec_lo, s5
	s_wait_dscnt 0x0
	s_barrier_signal -1
	s_barrier_wait -1
	s_and_saveexec_b32 s5, vcc_lo
	s_cbranch_execz .LBB3_16
; %bb.15:
	s_wait_kmcnt 0x0
	s_mul_i32 s3, s4, s3
	s_load_b64 s[0:1], s[0:1], 0x10
	s_add_co_i32 s2, s3, s2
	s_delay_alu instid0(SALU_CYCLE_1)
	v_dual_mov_b32 v0, 0 :: v_dual_mov_b32 v2, s2
	ds_load_b64 v[0:1], v0
	s_wait_dscnt 0x0
	s_wait_kmcnt 0x0
	global_store_b64 v2, v[0:1], s[0:1] scale_offset
.LBB3_16:
	s_endpgm
	.section	.rodata,"a",@progbits
	.p2align	6, 0x0
	.amdhsa_kernel _Z12sum_pressurePKdS0_Pd
		.amdhsa_group_segment_fixed_size 1024
		.amdhsa_private_segment_fixed_size 0
		.amdhsa_kernarg_size 280
		.amdhsa_user_sgpr_count 2
		.amdhsa_user_sgpr_dispatch_ptr 0
		.amdhsa_user_sgpr_queue_ptr 0
		.amdhsa_user_sgpr_kernarg_segment_ptr 1
		.amdhsa_user_sgpr_dispatch_id 0
		.amdhsa_user_sgpr_kernarg_preload_length 0
		.amdhsa_user_sgpr_kernarg_preload_offset 0
		.amdhsa_user_sgpr_private_segment_size 0
		.amdhsa_wavefront_size32 1
		.amdhsa_uses_dynamic_stack 0
		.amdhsa_enable_private_segment 0
		.amdhsa_system_sgpr_workgroup_id_x 1
		.amdhsa_system_sgpr_workgroup_id_y 1
		.amdhsa_system_sgpr_workgroup_id_z 0
		.amdhsa_system_sgpr_workgroup_info 0
		.amdhsa_system_vgpr_workitem_id 1
		.amdhsa_next_free_vgpr 6
		.amdhsa_next_free_sgpr 12
		.amdhsa_named_barrier_count 0
		.amdhsa_reserve_vcc 1
		.amdhsa_float_round_mode_32 0
		.amdhsa_float_round_mode_16_64 0
		.amdhsa_float_denorm_mode_32 3
		.amdhsa_float_denorm_mode_16_64 3
		.amdhsa_fp16_overflow 0
		.amdhsa_memory_ordered 1
		.amdhsa_forward_progress 1
		.amdhsa_inst_pref_size 6
		.amdhsa_round_robin_scheduling 0
		.amdhsa_exception_fp_ieee_invalid_op 0
		.amdhsa_exception_fp_denorm_src 0
		.amdhsa_exception_fp_ieee_div_zero 0
		.amdhsa_exception_fp_ieee_overflow 0
		.amdhsa_exception_fp_ieee_underflow 0
		.amdhsa_exception_fp_ieee_inexact 0
		.amdhsa_exception_int_div_zero 0
	.end_amdhsa_kernel
	.text
.Lfunc_end3:
	.size	_Z12sum_pressurePKdS0_Pd, .Lfunc_end3-_Z12sum_pressurePKdS0_Pd
                                        ; -- End function
	.set _Z12sum_pressurePKdS0_Pd.num_vgpr, 6
	.set _Z12sum_pressurePKdS0_Pd.num_agpr, 0
	.set _Z12sum_pressurePKdS0_Pd.numbered_sgpr, 12
	.set _Z12sum_pressurePKdS0_Pd.num_named_barrier, 0
	.set _Z12sum_pressurePKdS0_Pd.private_seg_size, 0
	.set _Z12sum_pressurePKdS0_Pd.uses_vcc, 1
	.set _Z12sum_pressurePKdS0_Pd.uses_flat_scratch, 0
	.set _Z12sum_pressurePKdS0_Pd.has_dyn_sized_stack, 0
	.set _Z12sum_pressurePKdS0_Pd.has_recursion, 0
	.set _Z12sum_pressurePKdS0_Pd.has_indirect_call, 0
	.section	.AMDGPU.csdata,"",@progbits
; Kernel info:
; codeLenInByte = 712
; TotalNumSgprs: 14
; NumVgprs: 6
; ScratchSize: 0
; MemoryBound: 0
; FloatMode: 240
; IeeeMode: 1
; LDSByteSize: 1024 bytes/workgroup (compile time only)
; SGPRBlocks: 0
; VGPRBlocks: 0
; NumSGPRsForWavesPerEU: 14
; NumVGPRsForWavesPerEU: 6
; NamedBarCnt: 0
; Occupancy: 16
; WaveLimiterHint : 0
; COMPUTE_PGM_RSRC2:SCRATCH_EN: 0
; COMPUTE_PGM_RSRC2:USER_SGPR: 2
; COMPUTE_PGM_RSRC2:TRAP_HANDLER: 0
; COMPUTE_PGM_RSRC2:TGID_X_EN: 1
; COMPUTE_PGM_RSRC2:TGID_Y_EN: 1
; COMPUTE_PGM_RSRC2:TGID_Z_EN: 0
; COMPUTE_PGM_RSRC2:TIDIG_COMP_CNT: 1
	.text
	.protected	_Z17set_horz_pres_BCsPdS_ ; -- Begin function _Z17set_horz_pres_BCsPdS_
	.globl	_Z17set_horz_pres_BCsPdS_
	.p2align	8
	.type	_Z17set_horz_pres_BCsPdS_,@function
_Z17set_horz_pres_BCsPdS_:              ; @_Z17set_horz_pres_BCsPdS_
; %bb.0:
	s_load_b32 s2, s[0:1], 0x1c
	s_bfe_u32 s3, ttmp6, 0x4000c
	s_and_b32 s4, ttmp6, 15
	s_add_co_i32 s3, s3, 1
	s_getreg_b32 s5, hwreg(HW_REG_IB_STS2, 6, 4)
	s_mul_i32 s3, ttmp9, s3
	s_delay_alu instid0(SALU_CYCLE_1) | instskip(SKIP_4) | instid1(SALU_CYCLE_1)
	s_add_co_i32 s4, s4, s3
	s_wait_kmcnt 0x0
	s_and_b32 s2, s2, 0xffff
	s_cmp_eq_u32 s5, 0
	s_cselect_b32 s3, ttmp9, s4
	v_mad_u32 v0, s3, s2, v0
	s_load_b128 s[0:3], s[0:1], 0x0
	s_delay_alu instid0(VALU_DEP_1)
	v_mul_lo_u32 v4, 0x204, v0
	s_wait_kmcnt 0x0
	s_clause 0x3
	global_load_b64 v[2:3], v4, s[2:3] offset:4136 scale_offset
	global_load_b64 v[6:7], v4, s[0:1] offset:6176 scale_offset
	;; [unrolled: 1-line block ×4, first 2 shown]
	v_ashrrev_i32_e32 v5, 31, v4
	s_delay_alu instid0(VALU_DEP_1)
	v_lshl_add_u64 v[10:11], v[4:5], 3, s[0:1]
	s_wait_loadcnt 0x1
	global_store_b128 v[10:11], v[0:3], off offset:4120
	s_wait_loadcnt 0x0
	s_clause 0x1
	global_store_b64 v4, v[8:9], s[2:3] offset:2064 scale_offset
	global_store_b64 v4, v[6:7], s[2:3] offset:6184 scale_offset
	s_endpgm
	.section	.rodata,"a",@progbits
	.p2align	6, 0x0
	.amdhsa_kernel _Z17set_horz_pres_BCsPdS_
		.amdhsa_group_segment_fixed_size 0
		.amdhsa_private_segment_fixed_size 0
		.amdhsa_kernarg_size 272
		.amdhsa_user_sgpr_count 2
		.amdhsa_user_sgpr_dispatch_ptr 0
		.amdhsa_user_sgpr_queue_ptr 0
		.amdhsa_user_sgpr_kernarg_segment_ptr 1
		.amdhsa_user_sgpr_dispatch_id 0
		.amdhsa_user_sgpr_kernarg_preload_length 0
		.amdhsa_user_sgpr_kernarg_preload_offset 0
		.amdhsa_user_sgpr_private_segment_size 0
		.amdhsa_wavefront_size32 1
		.amdhsa_uses_dynamic_stack 0
		.amdhsa_enable_private_segment 0
		.amdhsa_system_sgpr_workgroup_id_x 1
		.amdhsa_system_sgpr_workgroup_id_y 0
		.amdhsa_system_sgpr_workgroup_id_z 0
		.amdhsa_system_sgpr_workgroup_info 0
		.amdhsa_system_vgpr_workitem_id 0
		.amdhsa_next_free_vgpr 12
		.amdhsa_next_free_sgpr 6
		.amdhsa_named_barrier_count 0
		.amdhsa_reserve_vcc 0
		.amdhsa_float_round_mode_32 0
		.amdhsa_float_round_mode_16_64 0
		.amdhsa_float_denorm_mode_32 3
		.amdhsa_float_denorm_mode_16_64 3
		.amdhsa_fp16_overflow 0
		.amdhsa_memory_ordered 1
		.amdhsa_forward_progress 1
		.amdhsa_inst_pref_size 2
		.amdhsa_round_robin_scheduling 0
		.amdhsa_exception_fp_ieee_invalid_op 0
		.amdhsa_exception_fp_denorm_src 0
		.amdhsa_exception_fp_ieee_div_zero 0
		.amdhsa_exception_fp_ieee_overflow 0
		.amdhsa_exception_fp_ieee_underflow 0
		.amdhsa_exception_fp_ieee_inexact 0
		.amdhsa_exception_int_div_zero 0
	.end_amdhsa_kernel
	.text
.Lfunc_end4:
	.size	_Z17set_horz_pres_BCsPdS_, .Lfunc_end4-_Z17set_horz_pres_BCsPdS_
                                        ; -- End function
	.set _Z17set_horz_pres_BCsPdS_.num_vgpr, 12
	.set _Z17set_horz_pres_BCsPdS_.num_agpr, 0
	.set _Z17set_horz_pres_BCsPdS_.numbered_sgpr, 6
	.set _Z17set_horz_pres_BCsPdS_.num_named_barrier, 0
	.set _Z17set_horz_pres_BCsPdS_.private_seg_size, 0
	.set _Z17set_horz_pres_BCsPdS_.uses_vcc, 0
	.set _Z17set_horz_pres_BCsPdS_.uses_flat_scratch, 0
	.set _Z17set_horz_pres_BCsPdS_.has_dyn_sized_stack, 0
	.set _Z17set_horz_pres_BCsPdS_.has_recursion, 0
	.set _Z17set_horz_pres_BCsPdS_.has_indirect_call, 0
	.section	.AMDGPU.csdata,"",@progbits
; Kernel info:
; codeLenInByte = 216
; TotalNumSgprs: 6
; NumVgprs: 12
; ScratchSize: 0
; MemoryBound: 1
; FloatMode: 240
; IeeeMode: 1
; LDSByteSize: 0 bytes/workgroup (compile time only)
; SGPRBlocks: 0
; VGPRBlocks: 0
; NumSGPRsForWavesPerEU: 6
; NumVGPRsForWavesPerEU: 12
; NamedBarCnt: 0
; Occupancy: 16
; WaveLimiterHint : 1
; COMPUTE_PGM_RSRC2:SCRATCH_EN: 0
; COMPUTE_PGM_RSRC2:USER_SGPR: 2
; COMPUTE_PGM_RSRC2:TRAP_HANDLER: 0
; COMPUTE_PGM_RSRC2:TGID_X_EN: 1
; COMPUTE_PGM_RSRC2:TGID_Y_EN: 0
; COMPUTE_PGM_RSRC2:TGID_Z_EN: 0
; COMPUTE_PGM_RSRC2:TIDIG_COMP_CNT: 0
	.text
	.protected	_Z17set_vert_pres_BCsPdS_ ; -- Begin function _Z17set_vert_pres_BCsPdS_
	.globl	_Z17set_vert_pres_BCsPdS_
	.p2align	8
	.type	_Z17set_vert_pres_BCsPdS_,@function
_Z17set_vert_pres_BCsPdS_:              ; @_Z17set_vert_pres_BCsPdS_
; %bb.0:
	s_load_b32 s4, s[0:1], 0x1c
	s_bfe_u32 s5, ttmp6, 0x4000c
	s_wait_xcnt 0x0
	s_load_b128 s[0:3], s[0:1], 0x0
	s_add_co_i32 s5, s5, 1
	s_and_b32 s6, ttmp6, 15
	s_mul_i32 s5, ttmp9, s5
	s_getreg_b32 s7, hwreg(HW_REG_IB_STS2, 6, 4)
	s_add_co_i32 s6, s6, s5
	s_wait_kmcnt 0x0
	s_and_b32 s4, s4, 0xffff
	s_cmp_eq_u32 s7, 0
	s_cselect_b32 s5, ttmp9, s6
	s_delay_alu instid0(SALU_CYCLE_1)
	v_mad_u32 v8, s5, s4, v0
	s_clause 0x3
	global_load_b64 v[0:1], v8, s[0:1] offset:2072 scale_offset
	global_load_b64 v[2:3], v8, s[2:3] offset:2072 scale_offset
	;; [unrolled: 1-line block ×4, first 2 shown]
	s_wait_loadcnt 0x3
	global_store_b64 v8, v[0:1], s[2:3] offset:8 scale_offset
	s_wait_loadcnt 0x2
	global_store_b64 v8, v[2:3], s[0:1] offset:8 scale_offset
	;; [unrolled: 2-line block ×4, first 2 shown]
	s_endpgm
	.section	.rodata,"a",@progbits
	.p2align	6, 0x0
	.amdhsa_kernel _Z17set_vert_pres_BCsPdS_
		.amdhsa_group_segment_fixed_size 0
		.amdhsa_private_segment_fixed_size 0
		.amdhsa_kernarg_size 272
		.amdhsa_user_sgpr_count 2
		.amdhsa_user_sgpr_dispatch_ptr 0
		.amdhsa_user_sgpr_queue_ptr 0
		.amdhsa_user_sgpr_kernarg_segment_ptr 1
		.amdhsa_user_sgpr_dispatch_id 0
		.amdhsa_user_sgpr_kernarg_preload_length 0
		.amdhsa_user_sgpr_kernarg_preload_offset 0
		.amdhsa_user_sgpr_private_segment_size 0
		.amdhsa_wavefront_size32 1
		.amdhsa_uses_dynamic_stack 0
		.amdhsa_enable_private_segment 0
		.amdhsa_system_sgpr_workgroup_id_x 1
		.amdhsa_system_sgpr_workgroup_id_y 0
		.amdhsa_system_sgpr_workgroup_id_z 0
		.amdhsa_system_sgpr_workgroup_info 0
		.amdhsa_system_vgpr_workitem_id 0
		.amdhsa_next_free_vgpr 9
		.amdhsa_next_free_sgpr 8
		.amdhsa_named_barrier_count 0
		.amdhsa_reserve_vcc 0
		.amdhsa_float_round_mode_32 0
		.amdhsa_float_round_mode_16_64 0
		.amdhsa_float_denorm_mode_32 3
		.amdhsa_float_denorm_mode_16_64 3
		.amdhsa_fp16_overflow 0
		.amdhsa_memory_ordered 1
		.amdhsa_forward_progress 1
		.amdhsa_inst_pref_size 2
		.amdhsa_round_robin_scheduling 0
		.amdhsa_exception_fp_ieee_invalid_op 0
		.amdhsa_exception_fp_denorm_src 0
		.amdhsa_exception_fp_ieee_div_zero 0
		.amdhsa_exception_fp_ieee_overflow 0
		.amdhsa_exception_fp_ieee_underflow 0
		.amdhsa_exception_fp_ieee_inexact 0
		.amdhsa_exception_int_div_zero 0
	.end_amdhsa_kernel
	.text
.Lfunc_end5:
	.size	_Z17set_vert_pres_BCsPdS_, .Lfunc_end5-_Z17set_vert_pres_BCsPdS_
                                        ; -- End function
	.set _Z17set_vert_pres_BCsPdS_.num_vgpr, 9
	.set _Z17set_vert_pres_BCsPdS_.num_agpr, 0
	.set _Z17set_vert_pres_BCsPdS_.numbered_sgpr, 8
	.set _Z17set_vert_pres_BCsPdS_.num_named_barrier, 0
	.set _Z17set_vert_pres_BCsPdS_.private_seg_size, 0
	.set _Z17set_vert_pres_BCsPdS_.uses_vcc, 0
	.set _Z17set_vert_pres_BCsPdS_.uses_flat_scratch, 0
	.set _Z17set_vert_pres_BCsPdS_.has_dyn_sized_stack, 0
	.set _Z17set_vert_pres_BCsPdS_.has_recursion, 0
	.set _Z17set_vert_pres_BCsPdS_.has_indirect_call, 0
	.section	.AMDGPU.csdata,"",@progbits
; Kernel info:
; codeLenInByte = 200
; TotalNumSgprs: 8
; NumVgprs: 9
; ScratchSize: 0
; MemoryBound: 1
; FloatMode: 240
; IeeeMode: 1
; LDSByteSize: 0 bytes/workgroup (compile time only)
; SGPRBlocks: 0
; VGPRBlocks: 0
; NumSGPRsForWavesPerEU: 8
; NumVGPRsForWavesPerEU: 9
; NamedBarCnt: 0
; Occupancy: 16
; WaveLimiterHint : 1
; COMPUTE_PGM_RSRC2:SCRATCH_EN: 0
; COMPUTE_PGM_RSRC2:USER_SGPR: 2
; COMPUTE_PGM_RSRC2:TRAP_HANDLER: 0
; COMPUTE_PGM_RSRC2:TGID_X_EN: 1
; COMPUTE_PGM_RSRC2:TGID_Y_EN: 0
; COMPUTE_PGM_RSRC2:TGID_Z_EN: 0
; COMPUTE_PGM_RSRC2:TIDIG_COMP_CNT: 0
	.text
	.protected	_Z10red_kerneldPKdS0_S0_Pd ; -- Begin function _Z10red_kerneldPKdS0_S0_Pd
	.globl	_Z10red_kerneldPKdS0_S0_Pd
	.p2align	8
	.type	_Z10red_kerneldPKdS0_S0_Pd,@function
_Z10red_kerneldPKdS0_S0_Pd:             ; @_Z10red_kerneldPKdS0_S0_Pd
; %bb.0:
	s_load_b32 s2, s[0:1], 0x34
	s_bfe_u32 s4, ttmp6, 0x4000c
	s_bfe_u32 s5, ttmp6, 0x40010
	s_add_co_i32 s4, s4, 1
	s_add_co_i32 s5, s5, 1
	s_and_b32 s3, ttmp6, 15
	s_bfe_u32 s6, ttmp6, 0x40004
	s_mul_i32 s4, ttmp9, s4
	s_mul_i32 s5, ttmp7, s5
	s_getreg_b32 s7, hwreg(HW_REG_IB_STS2, 6, 4)
	v_bfe_u32 v1, v0, 10, 10
	s_add_co_i32 s3, s3, s4
	s_add_co_i32 s6, s6, s5
	v_and_b32_e32 v0, 0x3ff, v0
	s_wait_kmcnt 0x0
	s_lshr_b32 s4, s2, 16
	s_and_b32 s2, s2, 0xffff
	s_cmp_eq_u32 s7, 0
	s_cselect_b32 s5, ttmp7, s6
	s_cselect_b32 s3, ttmp9, s3
	v_mad_u32 v8, s5, s4, v1
	s_mul_i32 s3, s3, s2
	s_load_b256 s[4:11], s[0:1], 0x0
	v_add3_u32 v9, v0, s3, 1
	s_wait_xcnt 0x0
	s_load_b64 s[0:1], s[0:1], 0x20
	s_delay_alu instid0(VALU_DEP_1) | instskip(NEXT) | instid1(VALU_DEP_1)
	v_dual_lshlrev_b32 v1, 1, v9 :: v_dual_add_nc_u32 v0, 1, v8
	v_and_b32_e32 v10, 1, v0
	s_delay_alu instid0(VALU_DEP_1) | instskip(NEXT) | instid1(VALU_DEP_1)
	v_sub_nc_u32_e32 v0, v1, v10
	v_mad_u32 v11, 0x202, v8, v0
	s_delay_alu instid0(VALU_DEP_1)
	v_add_nc_u32_e32 v12, 0x202, v11
	v_add_nc_u32_e32 v13, 0x201, v11
	s_wait_kmcnt 0x0
	s_clause 0x1
	global_load_b64 v[0:1], v12, s[8:9] scale_offset
	global_load_b64 v[2:3], v13, s[8:9] scale_offset
	s_clause 0x1
	global_load_b64 v[4:5], v12, s[6:7] scale_offset
	global_load_b64 v[6:7], v11, s[6:7] scale_offset
	s_wait_xcnt 0x1
	v_mad_u32 v12, 0x102, v8, v9
	v_and_b32_e32 v8, 1, v8
	s_delay_alu instid0(VALU_DEP_2) | instskip(SKIP_1) | instid1(VALU_DEP_1)
	v_add_nc_u32_e32 v20, 0x102, v12
	s_wait_xcnt 0x0
	v_add_nc_u32_e32 v11, v20, v8
	s_wait_loadcnt 0x2
	v_add_f64_e64 v[0:1], v[0:1], -v[2:3]
	v_sub_nc_u32_e32 v10, v20, v10
	s_wait_loadcnt 0x0
	v_add_f64_e64 v[4:5], v[4:5], -v[6:7]
	s_clause 0x3
	global_load_b64 v[2:3], v10, s[10:11] scale_offset
	global_load_b64 v[8:9], v11, s[10:11] scale_offset
	;; [unrolled: 1-line block ×3, first 2 shown]
	global_load_b64 v[10:11], v12, s[10:11] offset:4128 scale_offset
	global_load_b64 v[14:15], v20, s[0:1] scale_offset
	v_ldexp_f64 v[0:1], v[0:1], 9
	s_delay_alu instid0(VALU_DEP_1) | instskip(NEXT) | instid1(VALU_DEP_1)
	v_fmamk_f64 v[0:1], v[4:5], 0x40800000, v[0:1]
	v_div_scale_f64 v[4:5], null, s[4:5], s[4:5], v[0:1]
	s_wait_xcnt 0x1
	s_delay_alu instid0(VALU_DEP_1) | instskip(SKIP_1) | instid1(TRANS32_DEP_1)
	v_rcp_f64_e32 v[12:13], v[4:5]
	v_nop
	v_fma_f64 v[16:17], -v[4:5], v[12:13], 1.0
	s_delay_alu instid0(VALU_DEP_1) | instskip(NEXT) | instid1(VALU_DEP_1)
	v_fmac_f64_e32 v[12:13], v[12:13], v[16:17]
	v_fma_f64 v[16:17], -v[4:5], v[12:13], 1.0
	s_delay_alu instid0(VALU_DEP_1) | instskip(SKIP_1) | instid1(VALU_DEP_1)
	v_fmac_f64_e32 v[12:13], v[12:13], v[16:17]
	v_div_scale_f64 v[16:17], vcc_lo, v[0:1], s[4:5], v[0:1]
	v_mul_f64_e32 v[18:19], v[16:17], v[12:13]
	s_delay_alu instid0(VALU_DEP_1) | instskip(SKIP_4) | instid1(VALU_DEP_3)
	v_fma_f64 v[4:5], -v[4:5], v[18:19], v[16:17]
	s_wait_loadcnt 0x3
	v_add_f64_e32 v[2:3], v[2:3], v[8:9]
	s_wait_loadcnt 0x1
	v_add_f64_e32 v[6:7], v[6:7], v[10:11]
	v_div_fmas_f64 v[4:5], v[4:5], v[12:13], v[18:19]
	s_delay_alu instid0(VALU_DEP_3) | instskip(NEXT) | instid1(VALU_DEP_2)
	v_ldexp_f64 v[2:3], v[2:3], 18
	v_div_fixup_f64 v[0:1], v[4:5], s[4:5], v[0:1]
	s_delay_alu instid0(VALU_DEP_2) | instskip(NEXT) | instid1(VALU_DEP_1)
	v_fmamk_f64 v[2:3], v[6:7], 0x41100000, v[2:3]
	v_add_f64_e64 v[0:1], v[2:3], -v[0:1]
	s_wait_loadcnt 0x0
	v_mul_f64_e32 v[2:3], 0xbfe6666666666666, v[14:15]
	s_delay_alu instid0(VALU_DEP_2) | instskip(NEXT) | instid1(VALU_DEP_1)
	v_mul_f64_e32 v[0:1], 0x3ffb333333333333, v[0:1]
	v_fmamk_f64 v[0:1], v[0:1], 0x3eb00000, v[2:3]
	global_store_b64 v20, v[0:1], s[0:1] scale_offset
	s_endpgm
	.section	.rodata,"a",@progbits
	.p2align	6, 0x0
	.amdhsa_kernel _Z10red_kerneldPKdS0_S0_Pd
		.amdhsa_group_segment_fixed_size 0
		.amdhsa_private_segment_fixed_size 0
		.amdhsa_kernarg_size 296
		.amdhsa_user_sgpr_count 2
		.amdhsa_user_sgpr_dispatch_ptr 0
		.amdhsa_user_sgpr_queue_ptr 0
		.amdhsa_user_sgpr_kernarg_segment_ptr 1
		.amdhsa_user_sgpr_dispatch_id 0
		.amdhsa_user_sgpr_kernarg_preload_length 0
		.amdhsa_user_sgpr_kernarg_preload_offset 0
		.amdhsa_user_sgpr_private_segment_size 0
		.amdhsa_wavefront_size32 1
		.amdhsa_uses_dynamic_stack 0
		.amdhsa_enable_private_segment 0
		.amdhsa_system_sgpr_workgroup_id_x 1
		.amdhsa_system_sgpr_workgroup_id_y 1
		.amdhsa_system_sgpr_workgroup_id_z 0
		.amdhsa_system_sgpr_workgroup_info 0
		.amdhsa_system_vgpr_workitem_id 1
		.amdhsa_next_free_vgpr 21
		.amdhsa_next_free_sgpr 12
		.amdhsa_named_barrier_count 0
		.amdhsa_reserve_vcc 1
		.amdhsa_float_round_mode_32 0
		.amdhsa_float_round_mode_16_64 0
		.amdhsa_float_denorm_mode_32 3
		.amdhsa_float_denorm_mode_16_64 3
		.amdhsa_fp16_overflow 0
		.amdhsa_memory_ordered 1
		.amdhsa_forward_progress 1
		.amdhsa_inst_pref_size 5
		.amdhsa_round_robin_scheduling 0
		.amdhsa_exception_fp_ieee_invalid_op 0
		.amdhsa_exception_fp_denorm_src 0
		.amdhsa_exception_fp_ieee_div_zero 0
		.amdhsa_exception_fp_ieee_overflow 0
		.amdhsa_exception_fp_ieee_underflow 0
		.amdhsa_exception_fp_ieee_inexact 0
		.amdhsa_exception_int_div_zero 0
	.end_amdhsa_kernel
	.text
.Lfunc_end6:
	.size	_Z10red_kerneldPKdS0_S0_Pd, .Lfunc_end6-_Z10red_kerneldPKdS0_S0_Pd
                                        ; -- End function
	.set _Z10red_kerneldPKdS0_S0_Pd.num_vgpr, 21
	.set _Z10red_kerneldPKdS0_S0_Pd.num_agpr, 0
	.set _Z10red_kerneldPKdS0_S0_Pd.numbered_sgpr, 12
	.set _Z10red_kerneldPKdS0_S0_Pd.num_named_barrier, 0
	.set _Z10red_kerneldPKdS0_S0_Pd.private_seg_size, 0
	.set _Z10red_kerneldPKdS0_S0_Pd.uses_vcc, 1
	.set _Z10red_kerneldPKdS0_S0_Pd.uses_flat_scratch, 0
	.set _Z10red_kerneldPKdS0_S0_Pd.has_dyn_sized_stack, 0
	.set _Z10red_kerneldPKdS0_S0_Pd.has_recursion, 0
	.set _Z10red_kerneldPKdS0_S0_Pd.has_indirect_call, 0
	.section	.AMDGPU.csdata,"",@progbits
; Kernel info:
; codeLenInByte = 632
; TotalNumSgprs: 14
; NumVgprs: 21
; ScratchSize: 0
; MemoryBound: 0
; FloatMode: 240
; IeeeMode: 1
; LDSByteSize: 0 bytes/workgroup (compile time only)
; SGPRBlocks: 0
; VGPRBlocks: 1
; NumSGPRsForWavesPerEU: 14
; NumVGPRsForWavesPerEU: 21
; NamedBarCnt: 0
; Occupancy: 16
; WaveLimiterHint : 1
; COMPUTE_PGM_RSRC2:SCRATCH_EN: 0
; COMPUTE_PGM_RSRC2:USER_SGPR: 2
; COMPUTE_PGM_RSRC2:TRAP_HANDLER: 0
; COMPUTE_PGM_RSRC2:TGID_X_EN: 1
; COMPUTE_PGM_RSRC2:TGID_Y_EN: 1
; COMPUTE_PGM_RSRC2:TGID_Z_EN: 0
; COMPUTE_PGM_RSRC2:TIDIG_COMP_CNT: 1
	.text
	.protected	_Z12black_kerneldPKdS0_S0_Pd ; -- Begin function _Z12black_kerneldPKdS0_S0_Pd
	.globl	_Z12black_kerneldPKdS0_S0_Pd
	.p2align	8
	.type	_Z12black_kerneldPKdS0_S0_Pd,@function
_Z12black_kerneldPKdS0_S0_Pd:           ; @_Z12black_kerneldPKdS0_S0_Pd
; %bb.0:
	s_load_b32 s2, s[0:1], 0x34
	s_bfe_u32 s4, ttmp6, 0x4000c
	s_bfe_u32 s5, ttmp6, 0x40010
	s_add_co_i32 s4, s4, 1
	s_add_co_i32 s5, s5, 1
	s_and_b32 s3, ttmp6, 15
	s_bfe_u32 s6, ttmp6, 0x40004
	s_mul_i32 s4, ttmp9, s4
	s_mul_i32 s5, ttmp7, s5
	s_getreg_b32 s7, hwreg(HW_REG_IB_STS2, 6, 4)
	v_bfe_u32 v1, v0, 10, 10
	s_add_co_i32 s3, s3, s4
	s_add_co_i32 s6, s6, s5
	v_and_b32_e32 v0, 0x3ff, v0
	s_wait_kmcnt 0x0
	s_lshr_b32 s4, s2, 16
	s_and_b32 s2, s2, 0xffff
	s_cmp_eq_u32 s7, 0
	s_cselect_b32 s5, ttmp7, s6
	s_cselect_b32 s3, ttmp9, s3
	v_mad_u32 v8, s5, s4, v1
	s_mul_i32 s3, s3, s2
	s_load_b256 s[4:11], s[0:1], 0x0
	v_add3_u32 v9, v0, s3, 1
	s_wait_xcnt 0x0
	s_load_b64 s[0:1], s[0:1], 0x20
	s_delay_alu instid0(VALU_DEP_1) | instskip(NEXT) | instid1(VALU_DEP_1)
	v_dual_lshlrev_b32 v0, 1, v9 :: v_dual_bitop2_b32 v10, 1, v8 bitop3:0x40
	v_sub_nc_u32_e32 v0, v0, v10
	s_delay_alu instid0(VALU_DEP_1) | instskip(NEXT) | instid1(VALU_DEP_1)
	v_mad_u32 v11, 0x202, v8, v0
	v_add_nc_u32_e32 v12, 0x202, v11
	v_add_nc_u32_e32 v13, 0x201, v11
	s_wait_kmcnt 0x0
	s_clause 0x1
	global_load_b64 v[0:1], v12, s[8:9] scale_offset
	global_load_b64 v[2:3], v13, s[8:9] scale_offset
	s_clause 0x1
	global_load_b64 v[4:5], v12, s[6:7] scale_offset
	global_load_b64 v[6:7], v11, s[6:7] scale_offset
	s_wait_xcnt 0x1
	v_mad_u32 v12, 0x102, v8, v9
	v_add_nc_u32_e32 v8, 1, v8
	s_delay_alu instid0(VALU_DEP_1) | instskip(NEXT) | instid1(VALU_DEP_3)
	v_and_b32_e32 v8, 1, v8
	v_add_nc_u32_e32 v20, 0x102, v12
	s_wait_loadcnt 0x2
	v_add_f64_e64 v[0:1], v[0:1], -v[2:3]
	s_wait_xcnt 0x0
	s_delay_alu instid0(VALU_DEP_2)
	v_dual_sub_nc_u32 v10, v20, v10 :: v_dual_add_nc_u32 v11, v20, v8
	s_wait_loadcnt 0x0
	v_add_f64_e64 v[4:5], v[4:5], -v[6:7]
	s_clause 0x3
	global_load_b64 v[2:3], v10, s[10:11] scale_offset
	global_load_b64 v[8:9], v11, s[10:11] scale_offset
	;; [unrolled: 1-line block ×3, first 2 shown]
	global_load_b64 v[10:11], v12, s[10:11] offset:4128 scale_offset
	global_load_b64 v[14:15], v20, s[0:1] scale_offset
	v_ldexp_f64 v[0:1], v[0:1], 9
	s_delay_alu instid0(VALU_DEP_1) | instskip(NEXT) | instid1(VALU_DEP_1)
	v_fmamk_f64 v[0:1], v[4:5], 0x40800000, v[0:1]
	v_div_scale_f64 v[4:5], null, s[4:5], s[4:5], v[0:1]
	s_wait_xcnt 0x1
	s_delay_alu instid0(VALU_DEP_1) | instskip(SKIP_1) | instid1(TRANS32_DEP_1)
	v_rcp_f64_e32 v[12:13], v[4:5]
	v_nop
	v_fma_f64 v[16:17], -v[4:5], v[12:13], 1.0
	s_delay_alu instid0(VALU_DEP_1) | instskip(NEXT) | instid1(VALU_DEP_1)
	v_fmac_f64_e32 v[12:13], v[12:13], v[16:17]
	v_fma_f64 v[16:17], -v[4:5], v[12:13], 1.0
	s_delay_alu instid0(VALU_DEP_1) | instskip(SKIP_1) | instid1(VALU_DEP_1)
	v_fmac_f64_e32 v[12:13], v[12:13], v[16:17]
	v_div_scale_f64 v[16:17], vcc_lo, v[0:1], s[4:5], v[0:1]
	v_mul_f64_e32 v[18:19], v[16:17], v[12:13]
	s_delay_alu instid0(VALU_DEP_1) | instskip(SKIP_4) | instid1(VALU_DEP_3)
	v_fma_f64 v[4:5], -v[4:5], v[18:19], v[16:17]
	s_wait_loadcnt 0x3
	v_add_f64_e32 v[2:3], v[2:3], v[8:9]
	s_wait_loadcnt 0x1
	v_add_f64_e32 v[6:7], v[6:7], v[10:11]
	v_div_fmas_f64 v[4:5], v[4:5], v[12:13], v[18:19]
	s_delay_alu instid0(VALU_DEP_3) | instskip(NEXT) | instid1(VALU_DEP_2)
	v_ldexp_f64 v[2:3], v[2:3], 18
	v_div_fixup_f64 v[0:1], v[4:5], s[4:5], v[0:1]
	s_delay_alu instid0(VALU_DEP_2) | instskip(NEXT) | instid1(VALU_DEP_1)
	v_fmamk_f64 v[2:3], v[6:7], 0x41100000, v[2:3]
	v_add_f64_e64 v[0:1], v[2:3], -v[0:1]
	s_wait_loadcnt 0x0
	v_mul_f64_e32 v[2:3], 0xbfe6666666666666, v[14:15]
	s_delay_alu instid0(VALU_DEP_2) | instskip(NEXT) | instid1(VALU_DEP_1)
	v_mul_f64_e32 v[0:1], 0x3ffb333333333333, v[0:1]
	v_fmamk_f64 v[0:1], v[0:1], 0x3eb00000, v[2:3]
	global_store_b64 v20, v[0:1], s[0:1] scale_offset
	s_endpgm
	.section	.rodata,"a",@progbits
	.p2align	6, 0x0
	.amdhsa_kernel _Z12black_kerneldPKdS0_S0_Pd
		.amdhsa_group_segment_fixed_size 0
		.amdhsa_private_segment_fixed_size 0
		.amdhsa_kernarg_size 296
		.amdhsa_user_sgpr_count 2
		.amdhsa_user_sgpr_dispatch_ptr 0
		.amdhsa_user_sgpr_queue_ptr 0
		.amdhsa_user_sgpr_kernarg_segment_ptr 1
		.amdhsa_user_sgpr_dispatch_id 0
		.amdhsa_user_sgpr_kernarg_preload_length 0
		.amdhsa_user_sgpr_kernarg_preload_offset 0
		.amdhsa_user_sgpr_private_segment_size 0
		.amdhsa_wavefront_size32 1
		.amdhsa_uses_dynamic_stack 0
		.amdhsa_enable_private_segment 0
		.amdhsa_system_sgpr_workgroup_id_x 1
		.amdhsa_system_sgpr_workgroup_id_y 1
		.amdhsa_system_sgpr_workgroup_id_z 0
		.amdhsa_system_sgpr_workgroup_info 0
		.amdhsa_system_vgpr_workitem_id 1
		.amdhsa_next_free_vgpr 21
		.amdhsa_next_free_sgpr 12
		.amdhsa_named_barrier_count 0
		.amdhsa_reserve_vcc 1
		.amdhsa_float_round_mode_32 0
		.amdhsa_float_round_mode_16_64 0
		.amdhsa_float_denorm_mode_32 3
		.amdhsa_float_denorm_mode_16_64 3
		.amdhsa_fp16_overflow 0
		.amdhsa_memory_ordered 1
		.amdhsa_forward_progress 1
		.amdhsa_inst_pref_size 5
		.amdhsa_round_robin_scheduling 0
		.amdhsa_exception_fp_ieee_invalid_op 0
		.amdhsa_exception_fp_denorm_src 0
		.amdhsa_exception_fp_ieee_div_zero 0
		.amdhsa_exception_fp_ieee_overflow 0
		.amdhsa_exception_fp_ieee_underflow 0
		.amdhsa_exception_fp_ieee_inexact 0
		.amdhsa_exception_int_div_zero 0
	.end_amdhsa_kernel
	.text
.Lfunc_end7:
	.size	_Z12black_kerneldPKdS0_S0_Pd, .Lfunc_end7-_Z12black_kerneldPKdS0_S0_Pd
                                        ; -- End function
	.set _Z12black_kerneldPKdS0_S0_Pd.num_vgpr, 21
	.set _Z12black_kerneldPKdS0_S0_Pd.num_agpr, 0
	.set _Z12black_kerneldPKdS0_S0_Pd.numbered_sgpr, 12
	.set _Z12black_kerneldPKdS0_S0_Pd.num_named_barrier, 0
	.set _Z12black_kerneldPKdS0_S0_Pd.private_seg_size, 0
	.set _Z12black_kerneldPKdS0_S0_Pd.uses_vcc, 1
	.set _Z12black_kerneldPKdS0_S0_Pd.uses_flat_scratch, 0
	.set _Z12black_kerneldPKdS0_S0_Pd.has_dyn_sized_stack, 0
	.set _Z12black_kerneldPKdS0_S0_Pd.has_recursion, 0
	.set _Z12black_kerneldPKdS0_S0_Pd.has_indirect_call, 0
	.section	.AMDGPU.csdata,"",@progbits
; Kernel info:
; codeLenInByte = 636
; TotalNumSgprs: 14
; NumVgprs: 21
; ScratchSize: 0
; MemoryBound: 0
; FloatMode: 240
; IeeeMode: 1
; LDSByteSize: 0 bytes/workgroup (compile time only)
; SGPRBlocks: 0
; VGPRBlocks: 1
; NumSGPRsForWavesPerEU: 14
; NumVGPRsForWavesPerEU: 21
; NamedBarCnt: 0
; Occupancy: 16
; WaveLimiterHint : 1
; COMPUTE_PGM_RSRC2:SCRATCH_EN: 0
; COMPUTE_PGM_RSRC2:USER_SGPR: 2
; COMPUTE_PGM_RSRC2:TRAP_HANDLER: 0
; COMPUTE_PGM_RSRC2:TGID_X_EN: 1
; COMPUTE_PGM_RSRC2:TGID_Y_EN: 1
; COMPUTE_PGM_RSRC2:TGID_Z_EN: 0
; COMPUTE_PGM_RSRC2:TIDIG_COMP_CNT: 1
	.text
	.protected	_Z13calc_residualdPKdS0_S0_S0_Pd ; -- Begin function _Z13calc_residualdPKdS0_S0_S0_Pd
	.globl	_Z13calc_residualdPKdS0_S0_S0_Pd
	.p2align	8
	.type	_Z13calc_residualdPKdS0_S0_S0_Pd,@function
_Z13calc_residualdPKdS0_S0_S0_Pd:       ; @_Z13calc_residualdPKdS0_S0_S0_Pd
; %bb.0:
	s_load_b32 s2, s[0:1], 0x3c
	s_bfe_u32 s4, ttmp6, 0x4000c
	s_bfe_u32 s5, ttmp6, 0x40010
	s_add_co_i32 s4, s4, 1
	s_add_co_i32 s5, s5, 1
	s_and_b32 s3, ttmp6, 15
	s_bfe_u32 s6, ttmp6, 0x40004
	s_mul_i32 s4, ttmp9, s4
	s_mul_i32 s5, ttmp7, s5
	s_getreg_b32 s7, hwreg(HW_REG_IB_STS2, 6, 4)
	s_add_co_i32 s3, s3, s4
	s_add_co_i32 s6, s6, s5
	v_bfe_u32 v1, v0, 10, 10
	s_cmp_eq_u32 s7, 0
	v_and_b32_e32 v0, 0x3ff, v0
	s_cselect_b32 s3, ttmp9, s3
	s_cselect_b32 s12, ttmp7, s6
	s_wait_kmcnt 0x0
	s_lshr_b32 s4, s2, 16
	s_and_b32 s2, s2, 0xffff
	v_mad_u32 v1, s12, s4, v1
	s_mul_i32 s2, s3, s2
	s_load_b256 s[4:11], s[0:1], 0x0
	v_add3_u32 v18, v0, s2, 1
	s_delay_alu instid0(VALU_DEP_1) | instskip(SKIP_1) | instid1(VALU_DEP_2)
	v_dual_lshlrev_b32 v3, 1, v18 :: v_dual_add_nc_u32 v2, 1, v1
	v_mul_lo_u32 v10, 0x202, v1
	v_and_b32_e32 v28, 1, v2
	v_and_b32_e32 v22, 1, v1
	v_mad_u32 v1, 0x102, v1, v18
	s_delay_alu instid0(VALU_DEP_3) | instskip(SKIP_3) | instid1(VALU_DEP_2)
	v_sub_nc_u32_e32 v11, v3, v28
	v_add_nc_u32_e32 v2, 0x202, v10
	v_add_nc_u32_e32 v4, 0x201, v10
	v_sub_nc_u32_e32 v12, v3, v22
	v_dual_add_nc_u32 v19, v11, v2 :: v_dual_add_nc_u32 v13, v4, v11
	s_delay_alu instid0(VALU_DEP_2)
	v_dual_add_nc_u32 v20, v2, v12 :: v_dual_add_nc_u32 v14, v4, v12
	s_wait_kmcnt 0x0
	s_clause 0x3
	global_load_b64 v[2:3], v19, s[8:9] scale_offset
	global_load_b64 v[4:5], v13, s[8:9] scale_offset
	;; [unrolled: 1-line block ×4, first 2 shown]
	v_dual_add_nc_u32 v21, v11, v10 :: v_dual_add_nc_u32 v23, v12, v10
	s_clause 0x3
	global_load_b64 v[10:11], v19, s[6:7] scale_offset
	global_load_b64 v[12:13], v21, s[6:7] scale_offset
	;; [unrolled: 1-line block ×4, first 2 shown]
	s_clause 0x1
	s_load_b64 s[8:9], s[0:1], 0x20
	s_load_b32 s6, s[0:1], 0x34
	v_add_nc_u32_e32 v29, 0x102, v1
	s_delay_alu instid0(VALU_DEP_1)
	v_dual_add_nc_u32 v23, v29, v28 :: v_dual_sub_nc_u32 v26, v29, v22
	v_add_nc_u32_e32 v30, v29, v22
	s_wait_kmcnt 0x0
	global_load_b64 v[18:19], v29, s[8:9] scale_offset
	s_clause 0x2
	global_load_b64 v[20:21], v23, s[10:11] scale_offset
	global_load_b64 v[22:23], v29, s[10:11] scale_offset
	global_load_b64 v[24:25], v26, s[10:11] scale_offset
	s_wait_loadcnt 0xa
	v_add_f64_e64 v[2:3], v[2:3], -v[4:5]
	global_load_b64 v[4:5], v1, s[10:11] offset:4128 scale_offset
	global_load_b64 v[26:27], v30, s[8:9] scale_offset
	s_wait_loadcnt 0xa
	v_add_f64_e64 v[6:7], v[6:7], -v[8:9]
	s_wait_xcnt 0x0
	v_sub_nc_u32_e32 v30, v29, v28
	s_clause 0x1
	global_load_b64 v[8:9], v1, s[8:9] offset:4128 scale_offset
	global_load_b64 v[28:29], v1, s[10:11] scale_offset
	s_wait_loadcnt 0xa
	v_add_f64_e64 v[10:11], v[10:11], -v[12:13]
	s_wait_loadcnt 0x8
	v_add_f64_e64 v[14:15], v[14:15], -v[16:17]
	global_load_b64 v[12:13], v30, s[8:9] scale_offset
	s_wait_loadcnt 0x7
	v_fmac_f64_e32 v[20:21], -2.0, v[18:19]
	v_ldexp_f64 v[2:3], v[2:3], 9
	v_ldexp_f64 v[6:7], v[6:7], 9
	s_delay_alu instid0(VALU_DEP_2)
	v_fmac_f64_e32 v[2:3], 0x40800000, v[10:11]
	global_load_b64 v[10:11], v1, s[8:9] scale_offset
	v_fmac_f64_e32 v[6:7], 0x40800000, v[14:15]
	s_wait_xcnt 0x0
	v_lshlrev_b32_e32 v1, 3, v0
	v_div_scale_f64 v[14:15], null, s[4:5], s[4:5], v[2:3]
	s_delay_alu instid0(VALU_DEP_3) | instskip(SKIP_1) | instid1(VALU_DEP_3)
	v_div_scale_f64 v[16:17], null, s[4:5], s[4:5], v[6:7]
	v_div_scale_f64 v[38:39], vcc_lo, v[2:3], s[4:5], v[2:3]
	v_rcp_f64_e32 v[30:31], v[14:15]
	s_delay_alu instid0(VALU_DEP_2) | instskip(NEXT) | instid1(TRANS32_DEP_2)
	v_rcp_f64_e32 v[32:33], v[16:17]
	v_fma_f64 v[34:35], -v[14:15], v[30:31], 1.0
	s_delay_alu instid0(TRANS32_DEP_1) | instskip(NEXT) | instid1(VALU_DEP_2)
	v_fma_f64 v[36:37], -v[16:17], v[32:33], 1.0
	v_fmac_f64_e32 v[30:31], v[30:31], v[34:35]
	s_delay_alu instid0(VALU_DEP_2) | instskip(NEXT) | instid1(VALU_DEP_2)
	v_fmac_f64_e32 v[32:33], v[32:33], v[36:37]
	v_fma_f64 v[34:35], -v[14:15], v[30:31], 1.0
	s_delay_alu instid0(VALU_DEP_2) | instskip(NEXT) | instid1(VALU_DEP_2)
	v_fma_f64 v[36:37], -v[16:17], v[32:33], 1.0
	v_fmac_f64_e32 v[30:31], v[30:31], v[34:35]
	v_div_scale_f64 v[34:35], s2, v[6:7], s[4:5], v[6:7]
	s_delay_alu instid0(VALU_DEP_3) | instskip(NEXT) | instid1(VALU_DEP_3)
	v_fmac_f64_e32 v[32:33], v[32:33], v[36:37]
	v_mul_f64_e32 v[36:37], v[38:39], v[30:31]
	s_delay_alu instid0(VALU_DEP_2)
	v_mul_f64_e32 v[40:41], v[34:35], v[32:33]
	s_wait_loadcnt 0x5
	v_fmac_f64_e32 v[4:5], -2.0, v[18:19]
	s_wait_loadcnt 0x4
	v_fmac_f64_e32 v[26:27], -2.0, v[22:23]
	v_add_f64_e32 v[18:19], v[24:25], v[20:21]
	s_wait_loadcnt 0x3
	v_fmac_f64_e32 v[8:9], -2.0, v[22:23]
	v_fma_f64 v[14:15], -v[14:15], v[36:37], v[38:39]
	v_fma_f64 v[16:17], -v[16:17], v[40:41], v[34:35]
	s_wait_loadcnt 0x2
	v_add_f64_e32 v[4:5], v[28:29], v[4:5]
	s_wait_loadcnt 0x1
	v_add_f64_e32 v[12:13], v[12:13], v[26:27]
	v_ldexp_f64 v[18:19], v[18:19], 18
	v_div_fmas_f64 v[14:15], v[14:15], v[30:31], v[36:37]
	s_mov_b32 vcc_lo, s2
	s_mov_b32 s2, exec_lo
	v_div_fmas_f64 v[16:17], v[16:17], v[32:33], v[40:41]
	s_wait_loadcnt 0x0
	v_add_f64_e32 v[8:9], v[10:11], v[8:9]
	v_ldexp_f64 v[10:11], v[12:13], 18
	v_fmac_f64_e32 v[18:19], 0x41100000, v[4:5]
	v_div_fixup_f64 v[2:3], v[14:15], s[4:5], v[2:3]
	v_div_fixup_f64 v[4:5], v[16:17], s[4:5], v[6:7]
	s_delay_alu instid0(VALU_DEP_4) | instskip(NEXT) | instid1(VALU_DEP_2)
	v_fmac_f64_e32 v[10:11], 0x41100000, v[8:9]
	v_add_f64_e64 v[4:5], v[18:19], -v[4:5]
	s_delay_alu instid0(VALU_DEP_2) | instskip(NEXT) | instid1(VALU_DEP_2)
	v_add_f64_e64 v[2:3], v[10:11], -v[2:3]
	v_mul_f64_e32 v[4:5], v[4:5], v[4:5]
	s_delay_alu instid0(VALU_DEP_1)
	v_fmac_f64_e32 v[4:5], v[2:3], v[2:3]
	ds_store_b64 v1, v[4:5]
	s_wait_dscnt 0x0
	s_barrier_signal -1
	s_barrier_wait -1
	v_cmpx_gt_u32_e32 64, v0
	s_cbranch_execz .LBB8_2
; %bb.1:
	ds_load_2addr_stride64_b64 v[2:5], v1 offset1:1
	s_wait_dscnt 0x0
	v_add_f64_e32 v[2:3], v[4:5], v[2:3]
	ds_store_b64 v1, v[2:3]
.LBB8_2:
	s_or_b32 exec_lo, exec_lo, s2
	s_delay_alu instid0(SALU_CYCLE_1)
	s_mov_b32 s2, exec_lo
	s_wait_dscnt 0x0
	s_barrier_signal -1
	s_barrier_wait -1
	v_cmpx_gt_u32_e32 32, v0
	s_cbranch_execz .LBB8_4
; %bb.3:
	ds_load_2addr_b64 v[2:5], v1 offset1:32
	s_wait_dscnt 0x0
	v_add_f64_e32 v[2:3], v[4:5], v[2:3]
	ds_store_b64 v1, v[2:3]
.LBB8_4:
	s_or_b32 exec_lo, exec_lo, s2
	s_delay_alu instid0(SALU_CYCLE_1)
	s_mov_b32 s2, exec_lo
	s_wait_dscnt 0x0
	s_barrier_signal -1
	s_barrier_wait -1
	v_cmpx_gt_u32_e32 16, v0
	s_cbranch_execz .LBB8_6
; %bb.5:
	ds_load_2addr_b64 v[2:5], v1 offset1:16
	s_wait_dscnt 0x0
	v_add_f64_e32 v[2:3], v[4:5], v[2:3]
	ds_store_b64 v1, v[2:3]
.LBB8_6:
	;; [unrolled: 14-line block ×5, first 2 shown]
	s_or_b32 exec_lo, exec_lo, s2
	v_cmp_eq_u32_e32 vcc_lo, 0, v0
	s_wait_dscnt 0x0
	s_barrier_signal -1
	s_barrier_wait -1
	s_and_saveexec_b32 s2, vcc_lo
	s_cbranch_execz .LBB8_14
; %bb.13:
	ds_load_2addr_b64 v[2:5], v1 offset1:1
	s_wait_dscnt 0x0
	v_add_f64_e32 v[2:3], v[4:5], v[2:3]
	ds_store_b64 v1, v[2:3]
.LBB8_14:
	s_or_b32 exec_lo, exec_lo, s2
	s_wait_dscnt 0x0
	s_barrier_signal -1
	s_barrier_wait -1
	s_and_saveexec_b32 s2, vcc_lo
	s_cbranch_execz .LBB8_16
; %bb.15:
	s_mul_i32 s2, s6, s3
	s_load_b64 s[0:1], s[0:1], 0x28
	s_add_co_i32 s2, s2, s12
	s_delay_alu instid0(SALU_CYCLE_1)
	v_dual_mov_b32 v0, 0 :: v_dual_mov_b32 v2, s2
	ds_load_b64 v[0:1], v0
	s_wait_dscnt 0x0
	s_wait_kmcnt 0x0
	global_store_b64 v2, v[0:1], s[0:1] scale_offset
.LBB8_16:
	s_endpgm
	.section	.rodata,"a",@progbits
	.p2align	6, 0x0
	.amdhsa_kernel _Z13calc_residualdPKdS0_S0_S0_Pd
		.amdhsa_group_segment_fixed_size 1024
		.amdhsa_private_segment_fixed_size 0
		.amdhsa_kernarg_size 304
		.amdhsa_user_sgpr_count 2
		.amdhsa_user_sgpr_dispatch_ptr 0
		.amdhsa_user_sgpr_queue_ptr 0
		.amdhsa_user_sgpr_kernarg_segment_ptr 1
		.amdhsa_user_sgpr_dispatch_id 0
		.amdhsa_user_sgpr_kernarg_preload_length 0
		.amdhsa_user_sgpr_kernarg_preload_offset 0
		.amdhsa_user_sgpr_private_segment_size 0
		.amdhsa_wavefront_size32 1
		.amdhsa_uses_dynamic_stack 0
		.amdhsa_enable_private_segment 0
		.amdhsa_system_sgpr_workgroup_id_x 1
		.amdhsa_system_sgpr_workgroup_id_y 1
		.amdhsa_system_sgpr_workgroup_id_z 0
		.amdhsa_system_sgpr_workgroup_info 0
		.amdhsa_system_vgpr_workitem_id 1
		.amdhsa_next_free_vgpr 42
		.amdhsa_next_free_sgpr 13
		.amdhsa_named_barrier_count 0
		.amdhsa_reserve_vcc 1
		.amdhsa_float_round_mode_32 0
		.amdhsa_float_round_mode_16_64 0
		.amdhsa_float_denorm_mode_32 3
		.amdhsa_float_denorm_mode_16_64 3
		.amdhsa_fp16_overflow 0
		.amdhsa_memory_ordered 1
		.amdhsa_forward_progress 1
		.amdhsa_inst_pref_size 12
		.amdhsa_round_robin_scheduling 0
		.amdhsa_exception_fp_ieee_invalid_op 0
		.amdhsa_exception_fp_denorm_src 0
		.amdhsa_exception_fp_ieee_div_zero 0
		.amdhsa_exception_fp_ieee_overflow 0
		.amdhsa_exception_fp_ieee_underflow 0
		.amdhsa_exception_fp_ieee_inexact 0
		.amdhsa_exception_int_div_zero 0
	.end_amdhsa_kernel
	.text
.Lfunc_end8:
	.size	_Z13calc_residualdPKdS0_S0_S0_Pd, .Lfunc_end8-_Z13calc_residualdPKdS0_S0_S0_Pd
                                        ; -- End function
	.set _Z13calc_residualdPKdS0_S0_S0_Pd.num_vgpr, 42
	.set _Z13calc_residualdPKdS0_S0_S0_Pd.num_agpr, 0
	.set _Z13calc_residualdPKdS0_S0_S0_Pd.numbered_sgpr, 13
	.set _Z13calc_residualdPKdS0_S0_S0_Pd.num_named_barrier, 0
	.set _Z13calc_residualdPKdS0_S0_S0_Pd.private_seg_size, 0
	.set _Z13calc_residualdPKdS0_S0_S0_Pd.uses_vcc, 1
	.set _Z13calc_residualdPKdS0_S0_S0_Pd.uses_flat_scratch, 0
	.set _Z13calc_residualdPKdS0_S0_S0_Pd.has_dyn_sized_stack, 0
	.set _Z13calc_residualdPKdS0_S0_S0_Pd.has_recursion, 0
	.set _Z13calc_residualdPKdS0_S0_S0_Pd.has_indirect_call, 0
	.section	.AMDGPU.csdata,"",@progbits
; Kernel info:
; codeLenInByte = 1420
; TotalNumSgprs: 15
; NumVgprs: 42
; ScratchSize: 0
; MemoryBound: 0
; FloatMode: 240
; IeeeMode: 1
; LDSByteSize: 1024 bytes/workgroup (compile time only)
; SGPRBlocks: 0
; VGPRBlocks: 2
; NumSGPRsForWavesPerEU: 15
; NumVGPRsForWavesPerEU: 42
; NamedBarCnt: 0
; Occupancy: 16
; WaveLimiterHint : 1
; COMPUTE_PGM_RSRC2:SCRATCH_EN: 0
; COMPUTE_PGM_RSRC2:USER_SGPR: 2
; COMPUTE_PGM_RSRC2:TRAP_HANDLER: 0
; COMPUTE_PGM_RSRC2:TGID_X_EN: 1
; COMPUTE_PGM_RSRC2:TGID_Y_EN: 1
; COMPUTE_PGM_RSRC2:TGID_Z_EN: 0
; COMPUTE_PGM_RSRC2:TIDIG_COMP_CNT: 1
	.text
	.protected	_Z11calculate_udPKdS0_S0_PdS1_ ; -- Begin function _Z11calculate_udPKdS0_S0_PdS1_
	.globl	_Z11calculate_udPKdS0_S0_PdS1_
	.p2align	8
	.type	_Z11calculate_udPKdS0_S0_PdS1_,@function
_Z11calculate_udPKdS0_S0_PdS1_:         ; @_Z11calculate_udPKdS0_S0_PdS1_
; %bb.0:
	s_load_b32 s2, s[0:1], 0x3c
	s_bfe_u32 s4, ttmp6, 0x4000c
	s_bfe_u32 s5, ttmp6, 0x40010
	s_add_co_i32 s4, s4, 1
	s_add_co_i32 s5, s5, 1
	s_and_b32 s3, ttmp6, 15
	s_bfe_u32 s6, ttmp6, 0x40004
	s_mul_i32 s4, ttmp9, s4
	s_mul_i32 s5, ttmp7, s5
	s_getreg_b32 s7, hwreg(HW_REG_IB_STS2, 6, 4)
	v_bfe_u32 v1, v0, 10, 10
	s_add_co_i32 s8, s3, s4
	s_add_co_i32 s6, s6, s5
	v_and_b32_e32 v4, 0x3ff, v0
                                        ; implicit-def: $vgpr2_vgpr3
	s_wait_kmcnt 0x0
	s_lshr_b32 s3, s2, 16
	s_and_b32 s9, s2, 0xffff
	s_cmp_eq_u32 s7, 0
	s_cselect_b32 s4, ttmp7, s6
	s_cselect_b32 s6, ttmp9, s8
	v_mad_u32 v5, s4, s3, v1
	s_clause 0x1
	s_load_b64 s[2:3], s[0:1], 0x20
	s_load_b32 s5, s[0:1], 0x34
	s_mul_i32 s7, s6, s9
	s_delay_alu instid0(SALU_CYCLE_1) | instskip(SKIP_1) | instid1(VALU_DEP_1)
	v_add3_u32 v1, v4, s7, 1
	s_mov_b32 s7, exec_lo
	v_lshlrev_b32_e32 v0, 1, v1
	s_delay_alu instid0(VALU_DEP_3) | instskip(NEXT) | instid1(VALU_DEP_1)
	v_add_nc_u32_e32 v6, 1, v5
	v_cmpx_ne_u32_e32 0x200, v6
	s_xor_b32 s7, exec_lo, s7
	s_cbranch_execz .LBB9_4
; %bb.1:
	s_load_b256 s[8:15], s[0:1], 0x0
	v_mul_lo_u32 v2, 0x102, v5
	v_mad_u32 v7, 0x102, v6, v1
	v_and_b32_e32 v5, 1, v5
	s_delay_alu instid0(VALU_DEP_3)
	v_add3_u32 v14, v1, v2, 0x204
	s_wait_kmcnt 0x0
	global_load_b64 v[2:3], v7, s[12:13] scale_offset
	s_clause 0x1
	global_load_b64 v[8:9], v14, s[14:15] scale_offset
	global_load_b64 v[10:11], v14, s[12:13] scale_offset
	;; [unrolled: 1-line block ×3, first 2 shown]
	s_wait_xcnt 0x0
	v_mul_lo_u32 v7, 0x202, v6
	v_and_b32_e32 v6, 1, v6
	s_delay_alu instid0(VALU_DEP_1) | instskip(NEXT) | instid1(VALU_DEP_1)
	v_dual_sub_nc_u32 v6, v0, v6 :: v_dual_sub_nc_u32 v0, v0, v5
	v_dual_add_nc_u32 v5, v6, v7 :: v_dual_add_nc_u32 v0, v0, v7
	s_clause 0x1
	global_load_b64 v[14:15], v5, s[10:11] scale_offset
	global_load_b64 v[16:17], v0, s[10:11] scale_offset
	s_wait_loadcnt 0x4
	v_add_f64_e64 v[2:3], v[8:9], -v[2:3]
	s_wait_loadcnt 0x2
	v_add_f64_e64 v[8:9], v[10:11], -v[12:13]
	s_delay_alu instid0(VALU_DEP_2) | instskip(NEXT) | instid1(VALU_DEP_2)
	v_mul_f64_e32 v[2:3], s[8:9], v[2:3]
	v_mul_f64_e32 v[8:9], s[8:9], v[8:9]
	s_mov_b32 s8, exec_lo
	s_wait_loadcnt 0x1
	s_delay_alu instid0(VALU_DEP_2) | instskip(SKIP_1) | instid1(VALU_DEP_2)
	v_fmac_f64_e32 v[14:15], 0xc0800000, v[2:3]
	s_wait_loadcnt 0x0
	v_fmac_f64_e32 v[16:17], 0xc0800000, v[8:9]
	s_clause 0x1
	global_store_b64 v5, v[14:15], s[2:3] scale_offset
	global_store_b64 v0, v[16:17], s[2:3] scale_offset
	v_max_num_f64_e64 v[2:3], |v[14:15]|, |v[16:17]|
	s_wait_xcnt 0x0
	v_cmpx_eq_u32_e32 0x100, v1
	s_cbranch_execz .LBB9_3
; %bb.2:
	global_load_b64 v[0:1], v7, s[2:3] offset:4104 scale_offset
	v_max_num_f64_e32 v[2:3], v[2:3], v[2:3]
	s_wait_loadcnt 0x0
	v_max_num_f64_e64 v[0:1], |v[0:1]|, |v[0:1]|
	s_delay_alu instid0(VALU_DEP_1)
	v_max_num_f64_e32 v[2:3], v[2:3], v[0:1]
.LBB9_3:
	s_wait_xcnt 0x0
	s_or_b32 exec_lo, exec_lo, s8
                                        ; implicit-def: $vgpr0
.LBB9_4:
	s_and_not1_saveexec_b32 s7, s7
	s_cbranch_execz .LBB9_6
; %bb.5:
	v_ashrrev_i32_e32 v1, 31, v0
	s_wait_kmcnt 0x0
	s_delay_alu instid0(VALU_DEP_1)
	v_lshl_add_u64 v[14:15], v[0:1], 3, s[2:3]
	s_clause 0x2
	global_load_b128 v[0:3], v[14:15], off offset:-8
	global_load_b128 v[6:9], v[14:15], off offset:2105336
	global_load_b128 v[10:13], v[14:15], off offset:2109448
	s_wait_loadcnt 0x2
	v_max_num_f64_e64 v[2:3], |v[2:3]|, |v[2:3]|
	s_wait_loadcnt 0x1
	v_max_num_f64_e64 v[8:9], |v[8:9]|, |v[8:9]|
	v_max_num_f64_e64 v[6:7], |v[6:7]|, |v[6:7]|
	;; [unrolled: 1-line block ×3, first 2 shown]
	s_delay_alu instid0(VALU_DEP_3) | instskip(NEXT) | instid1(VALU_DEP_1)
	v_max_num_f64_e32 v[2:3], v[8:9], v[2:3]
	v_max_num_f64_e32 v[2:3], v[6:7], v[2:3]
	s_wait_loadcnt 0x0
	v_max_num_f64_e64 v[6:7], |v[12:13]|, |v[12:13]|
	s_delay_alu instid0(VALU_DEP_2) | instskip(SKIP_1) | instid1(VALU_DEP_2)
	v_max_num_f64_e32 v[0:1], v[0:1], v[2:3]
	v_max_num_f64_e64 v[2:3], |v[10:11]|, |v[10:11]|
	v_max_num_f64_e32 v[0:1], v[6:7], v[0:1]
	s_delay_alu instid0(VALU_DEP_1)
	v_max_num_f64_e32 v[2:3], v[2:3], v[0:1]
.LBB9_6:
	s_wait_xcnt 0x0
	s_or_b32 exec_lo, exec_lo, s7
	v_lshlrev_b32_e32 v0, 3, v4
	s_wait_kmcnt 0x0
	s_mov_b32 s2, exec_lo
	ds_store_b64 v0, v[2:3]
	s_wait_storecnt_dscnt 0x0
	s_barrier_signal -1
	s_barrier_wait -1
	v_cmpx_gt_u32_e32 64, v4
	s_cbranch_execz .LBB9_8
; %bb.7:
	ds_load_2addr_stride64_b64 v[6:9], v0 offset1:1
	s_wait_dscnt 0x0
	v_max_num_f64_e32 v[2:3], v[8:9], v[8:9]
	v_max_num_f64_e32 v[6:7], v[6:7], v[6:7]
	s_delay_alu instid0(VALU_DEP_1)
	v_max_num_f64_e32 v[2:3], v[6:7], v[2:3]
	ds_store_b64 v0, v[2:3]
.LBB9_8:
	s_or_b32 exec_lo, exec_lo, s2
	s_delay_alu instid0(SALU_CYCLE_1)
	s_mov_b32 s2, exec_lo
	s_wait_dscnt 0x0
	s_barrier_signal -1
	s_barrier_wait -1
	v_cmpx_gt_u32_e32 32, v4
	s_cbranch_execz .LBB9_10
; %bb.9:
	ds_load_2addr_b64 v[6:9], v0 offset1:32
	s_wait_dscnt 0x0
	v_max_num_f64_e32 v[2:3], v[8:9], v[8:9]
	v_max_num_f64_e32 v[6:7], v[6:7], v[6:7]
	s_delay_alu instid0(VALU_DEP_1)
	v_max_num_f64_e32 v[2:3], v[6:7], v[2:3]
	ds_store_b64 v0, v[2:3]
.LBB9_10:
	s_or_b32 exec_lo, exec_lo, s2
	s_delay_alu instid0(SALU_CYCLE_1)
	s_mov_b32 s2, exec_lo
	s_wait_dscnt 0x0
	s_barrier_signal -1
	s_barrier_wait -1
	v_cmpx_gt_u32_e32 16, v4
	s_cbranch_execz .LBB9_12
; %bb.11:
	ds_load_2addr_b64 v[6:9], v0 offset1:16
	s_wait_dscnt 0x0
	v_max_num_f64_e32 v[2:3], v[8:9], v[8:9]
	v_max_num_f64_e32 v[6:7], v[6:7], v[6:7]
	s_delay_alu instid0(VALU_DEP_1)
	v_max_num_f64_e32 v[2:3], v[6:7], v[2:3]
	ds_store_b64 v0, v[2:3]
.LBB9_12:
	;; [unrolled: 17-line block ×5, first 2 shown]
	s_or_b32 exec_lo, exec_lo, s2
	v_cmp_eq_u32_e32 vcc_lo, 0, v4
	s_wait_dscnt 0x0
	s_barrier_signal -1
	s_barrier_wait -1
	s_and_saveexec_b32 s2, vcc_lo
	s_cbranch_execz .LBB9_20
; %bb.19:
	ds_load_2addr_b64 v[2:5], v0 offset1:1
	s_wait_dscnt 0x0
	v_max_num_f64_e32 v[4:5], v[4:5], v[4:5]
	v_max_num_f64_e32 v[2:3], v[2:3], v[2:3]
	s_delay_alu instid0(VALU_DEP_1)
	v_max_num_f64_e32 v[2:3], v[2:3], v[4:5]
	ds_store_b64 v0, v[2:3]
.LBB9_20:
	s_or_b32 exec_lo, exec_lo, s2
	s_wait_dscnt 0x0
	s_barrier_signal -1
	s_barrier_wait -1
	s_and_saveexec_b32 s2, vcc_lo
	s_cbranch_execz .LBB9_22
; %bb.21:
	s_mul_i32 s2, s5, s6
	s_load_b64 s[0:1], s[0:1], 0x28
	s_add_co_i32 s2, s2, s4
	s_delay_alu instid0(SALU_CYCLE_1)
	v_dual_mov_b32 v0, 0 :: v_dual_mov_b32 v2, s2
	ds_load_b64 v[0:1], v0
	s_wait_dscnt 0x0
	s_wait_kmcnt 0x0
	global_store_b64 v2, v[0:1], s[0:1] scale_offset
.LBB9_22:
	s_endpgm
	.section	.rodata,"a",@progbits
	.p2align	6, 0x0
	.amdhsa_kernel _Z11calculate_udPKdS0_S0_PdS1_
		.amdhsa_group_segment_fixed_size 1024
		.amdhsa_private_segment_fixed_size 0
		.amdhsa_kernarg_size 304
		.amdhsa_user_sgpr_count 2
		.amdhsa_user_sgpr_dispatch_ptr 0
		.amdhsa_user_sgpr_queue_ptr 0
		.amdhsa_user_sgpr_kernarg_segment_ptr 1
		.amdhsa_user_sgpr_dispatch_id 0
		.amdhsa_user_sgpr_kernarg_preload_length 0
		.amdhsa_user_sgpr_kernarg_preload_offset 0
		.amdhsa_user_sgpr_private_segment_size 0
		.amdhsa_wavefront_size32 1
		.amdhsa_uses_dynamic_stack 0
		.amdhsa_enable_private_segment 0
		.amdhsa_system_sgpr_workgroup_id_x 1
		.amdhsa_system_sgpr_workgroup_id_y 1
		.amdhsa_system_sgpr_workgroup_id_z 0
		.amdhsa_system_sgpr_workgroup_info 0
		.amdhsa_system_vgpr_workitem_id 1
		.amdhsa_next_free_vgpr 18
		.amdhsa_next_free_sgpr 16
		.amdhsa_named_barrier_count 0
		.amdhsa_reserve_vcc 1
		.amdhsa_float_round_mode_32 0
		.amdhsa_float_round_mode_16_64 0
		.amdhsa_float_denorm_mode_32 3
		.amdhsa_float_denorm_mode_16_64 3
		.amdhsa_fp16_overflow 0
		.amdhsa_memory_ordered 1
		.amdhsa_forward_progress 1
		.amdhsa_inst_pref_size 10
		.amdhsa_round_robin_scheduling 0
		.amdhsa_exception_fp_ieee_invalid_op 0
		.amdhsa_exception_fp_denorm_src 0
		.amdhsa_exception_fp_ieee_div_zero 0
		.amdhsa_exception_fp_ieee_overflow 0
		.amdhsa_exception_fp_ieee_underflow 0
		.amdhsa_exception_fp_ieee_inexact 0
		.amdhsa_exception_int_div_zero 0
	.end_amdhsa_kernel
	.text
.Lfunc_end9:
	.size	_Z11calculate_udPKdS0_S0_PdS1_, .Lfunc_end9-_Z11calculate_udPKdS0_S0_PdS1_
                                        ; -- End function
	.set _Z11calculate_udPKdS0_S0_PdS1_.num_vgpr, 18
	.set _Z11calculate_udPKdS0_S0_PdS1_.num_agpr, 0
	.set _Z11calculate_udPKdS0_S0_PdS1_.numbered_sgpr, 16
	.set _Z11calculate_udPKdS0_S0_PdS1_.num_named_barrier, 0
	.set _Z11calculate_udPKdS0_S0_PdS1_.private_seg_size, 0
	.set _Z11calculate_udPKdS0_S0_PdS1_.uses_vcc, 1
	.set _Z11calculate_udPKdS0_S0_PdS1_.uses_flat_scratch, 0
	.set _Z11calculate_udPKdS0_S0_PdS1_.has_dyn_sized_stack, 0
	.set _Z11calculate_udPKdS0_S0_PdS1_.has_recursion, 0
	.set _Z11calculate_udPKdS0_S0_PdS1_.has_indirect_call, 0
	.section	.AMDGPU.csdata,"",@progbits
; Kernel info:
; codeLenInByte = 1268
; TotalNumSgprs: 18
; NumVgprs: 18
; ScratchSize: 0
; MemoryBound: 0
; FloatMode: 240
; IeeeMode: 1
; LDSByteSize: 1024 bytes/workgroup (compile time only)
; SGPRBlocks: 0
; VGPRBlocks: 1
; NumSGPRsForWavesPerEU: 18
; NumVGPRsForWavesPerEU: 18
; NamedBarCnt: 0
; Occupancy: 16
; WaveLimiterHint : 1
; COMPUTE_PGM_RSRC2:SCRATCH_EN: 0
; COMPUTE_PGM_RSRC2:USER_SGPR: 2
; COMPUTE_PGM_RSRC2:TRAP_HANDLER: 0
; COMPUTE_PGM_RSRC2:TGID_X_EN: 1
; COMPUTE_PGM_RSRC2:TGID_Y_EN: 1
; COMPUTE_PGM_RSRC2:TGID_Z_EN: 0
; COMPUTE_PGM_RSRC2:TIDIG_COMP_CNT: 1
	.text
	.protected	_Z11calculate_vdPKdS0_S0_PdS1_ ; -- Begin function _Z11calculate_vdPKdS0_S0_PdS1_
	.globl	_Z11calculate_vdPKdS0_S0_PdS1_
	.p2align	8
	.type	_Z11calculate_vdPKdS0_S0_PdS1_,@function
_Z11calculate_vdPKdS0_S0_PdS1_:         ; @_Z11calculate_vdPKdS0_S0_PdS1_
; %bb.0:
	s_load_b32 s2, s[0:1], 0x3c
	s_bfe_u32 s4, ttmp6, 0x4000c
	s_bfe_u32 s5, ttmp6, 0x40010
	s_add_co_i32 s4, s4, 1
	s_add_co_i32 s5, s5, 1
	s_and_b32 s3, ttmp6, 15
	s_bfe_u32 s6, ttmp6, 0x40004
	s_mul_i32 s4, ttmp9, s4
	s_mul_i32 s5, ttmp7, s5
	s_getreg_b32 s7, hwreg(HW_REG_IB_STS2, 6, 4)
	s_add_co_i32 s14, s3, s4
	s_add_co_i32 s6, s6, s5
	v_bfe_u32 v1, v0, 10, 10
	v_and_b32_e32 v4, 0x3ff, v0
	s_wait_kmcnt 0x0
	s_lshr_b32 s3, s2, 16
	s_and_b32 s15, s2, 0xffff
	s_cmp_eq_u32 s7, 0
	s_cselect_b32 s12, ttmp7, s6
	s_cselect_b32 s14, ttmp9, s14
	v_mad_u32 v2, s12, s3, v1
	s_clause 0x2
	s_load_b64 s[2:3], s[0:1], 0x20
	s_load_b32 s13, s[0:1], 0x34
	s_load_b256 s[4:11], s[0:1], 0x0
	s_mul_i32 s15, s14, s15
	s_delay_alu instid0(SALU_CYCLE_1) | instskip(SKIP_1) | instid1(VALU_DEP_2)
	v_add3_u32 v6, v4, s15, 1
	s_mov_b32 s15, exec_lo
	v_dual_add_nc_u32 v1, 1, v2 :: v_dual_bitop2_b32 v5, 1, v2 bitop3:0x40
                                        ; implicit-def: $vgpr2_vgpr3
	s_delay_alu instid0(VALU_DEP_1) | instskip(NEXT) | instid1(VALU_DEP_3)
	v_mul_lo_u32 v0, 0x202, v1
	v_cmpx_ne_u32_e32 0x100, v6
	s_xor_b32 s15, exec_lo, s15
	s_cbranch_execz .LBB10_4
; %bb.1:
	v_mad_u32 v7, 0x102, v1, v6
	v_dual_lshlrev_b32 v6, 1, v6 :: v_dual_bitop2_b32 v14, 1, v1 bitop3:0x40
	s_mov_b32 s16, exec_lo
	s_delay_alu instid0(VALU_DEP_1)
	v_dual_add_nc_u32 v15, v7, v5 :: v_dual_add_nc_u32 v16, v7, v14
	s_wait_kmcnt 0x0
	global_load_b64 v[2:3], v7, s[8:9] scale_offset
	s_clause 0x1
	global_load_b64 v[8:9], v15, s[10:11] scale_offset
	global_load_b64 v[10:11], v7, s[10:11] scale_offset
	global_load_b64 v[12:13], v16, s[8:9] scale_offset
	s_wait_xcnt 0x1
	v_dual_sub_nc_u32 v7, v6, v14 :: v_dual_sub_nc_u32 v5, v6, v5
	s_delay_alu instid0(VALU_DEP_1)
	v_dual_add_nc_u32 v7, v7, v0 :: v_dual_add_nc_u32 v0, v5, v0
	s_clause 0x1
	global_load_b64 v[14:15], v7, s[6:7] scale_offset
	global_load_b64 v[16:17], v0, s[6:7] scale_offset
	s_wait_loadcnt 0x4
	v_add_f64_e64 v[2:3], v[8:9], -v[2:3]
	s_wait_loadcnt 0x2
	v_add_f64_e64 v[8:9], v[12:13], -v[10:11]
	s_delay_alu instid0(VALU_DEP_2) | instskip(NEXT) | instid1(VALU_DEP_2)
	v_mul_f64_e32 v[2:3], s[4:5], v[2:3]
	v_mul_f64_e32 v[8:9], s[4:5], v[8:9]
	s_wait_loadcnt 0x1
	s_delay_alu instid0(VALU_DEP_2) | instskip(SKIP_1) | instid1(VALU_DEP_2)
	v_fmac_f64_e32 v[14:15], 0xc0800000, v[2:3]
	s_wait_loadcnt 0x0
	v_fmac_f64_e32 v[16:17], 0xc0800000, v[8:9]
	s_clause 0x1
	global_store_b64 v7, v[14:15], s[2:3] scale_offset
	global_store_b64 v0, v[16:17], s[2:3] scale_offset
	v_max_num_f64_e64 v[2:3], |v[14:15]|, |v[16:17]|
	s_wait_xcnt 0x0
	v_cmpx_eq_u32_e32 0x200, v1
	s_cbranch_execz .LBB10_3
; %bb.2:
	global_load_b64 v[0:1], v6, s[2:3] offset:2109456 scale_offset
	v_max_num_f64_e32 v[2:3], v[2:3], v[2:3]
	s_wait_loadcnt 0x0
	v_max_num_f64_e64 v[0:1], |v[0:1]|, |v[0:1]|
	s_delay_alu instid0(VALU_DEP_1)
	v_max_num_f64_e32 v[2:3], v[2:3], v[0:1]
.LBB10_3:
	s_wait_xcnt 0x0
	s_or_b32 exec_lo, exec_lo, s16
                                        ; implicit-def: $vgpr5
                                        ; implicit-def: $vgpr1
                                        ; implicit-def: $vgpr0
.LBB10_4:
	s_and_not1_saveexec_b32 s15, s15
	s_cbranch_execz .LBB10_6
; %bb.5:
	v_mul_lo_u32 v2, 0x102, v1
	s_wait_kmcnt 0x0
	v_mov_b32_e32 v1, s9
	v_cmp_eq_u32_e32 vcc_lo, 0, v5
	v_dual_mov_b32 v5, s8 :: v_dual_mov_b32 v8, s11
	s_delay_alu instid0(VALU_DEP_1) | instskip(NEXT) | instid1(VALU_DEP_2)
	v_dual_mov_b32 v10, s10 :: v_dual_cndmask_b32 v6, s10, v5, vcc_lo
	v_cndmask_b32_e32 v9, s9, v8, vcc_lo
	s_delay_alu instid0(VALU_DEP_2) | instskip(SKIP_2) | instid1(VALU_DEP_2)
	v_cndmask_b32_e32 v8, s8, v10, vcc_lo
	v_dual_ashrrev_i32 v3, 31, v2 :: v_dual_cndmask_b32 v7, s11, v1, vcc_lo
	v_ashrrev_i32_e32 v1, 31, v0
	v_lshlrev_b64_e32 v[2:3], 3, v[2:3]
	s_delay_alu instid0(VALU_DEP_1)
	v_add_nc_u64_e32 v[6:7], v[6:7], v[2:3]
	v_add_nc_u64_e32 v[2:3], v[8:9], v[2:3]
	global_load_b64 v[10:11], v[6:7], off offset:2048
	global_load_b64 v[12:13], v[2:3], off offset:2048
	s_wait_xcnt 0x0
	v_lshl_add_u64 v[2:3], v[0:1], 3, s[2:3]
	global_load_b128 v[6:9], v[2:3], off offset:4096
	s_clause 0x1
	global_load_b64 v[14:15], v0, s[6:7] offset:4088 scale_offset
	global_load_b64 v[16:17], v0, s[2:3] scale_offset
	s_wait_loadcnt 0x3
	s_wait_xcnt 0x2
	v_add_f64_e64 v[2:3], v[12:13], -v[10:11]
	s_wait_loadcnt 0x2
	v_max_num_f64_e64 v[6:7], |v[6:7]|, |v[6:7]|
	s_delay_alu instid0(VALU_DEP_2) | instskip(SKIP_1) | instid1(VALU_DEP_1)
	v_mul_f64_e32 v[2:3], s[4:5], v[2:3]
	s_wait_loadcnt 0x1
	v_fmamk_f64 v[10:11], v[2:3], 0xc0800000, v[14:15]
	s_wait_loadcnt 0x0
	v_max_num_f64_e64 v[2:3], |v[16:17]|, |v[16:17]|
	s_delay_alu instid0(VALU_DEP_2) | instskip(SKIP_3) | instid1(VALU_DEP_1)
	v_max_num_f64_e64 v[6:7], v[6:7], |v[10:11]|
	global_store_b64 v0, v[10:11], s[2:3] offset:4088 scale_offset
	v_max_num_f64_e32 v[2:3], v[2:3], v[6:7]
	v_max_num_f64_e64 v[6:7], |v[8:9]|, |v[8:9]|
	v_max_num_f64_e32 v[2:3], v[6:7], v[2:3]
.LBB10_6:
	s_wait_xcnt 0x0
	s_or_b32 exec_lo, exec_lo, s15
	v_lshlrev_b32_e32 v0, 3, v4
	s_wait_kmcnt 0x0
	s_mov_b32 s2, exec_lo
	ds_store_b64 v0, v[2:3]
	s_wait_storecnt_dscnt 0x0
	s_barrier_signal -1
	s_barrier_wait -1
	v_cmpx_gt_u32_e32 64, v4
	s_cbranch_execz .LBB10_8
; %bb.7:
	ds_load_2addr_stride64_b64 v[6:9], v0 offset1:1
	s_wait_dscnt 0x0
	v_max_num_f64_e32 v[2:3], v[8:9], v[8:9]
	v_max_num_f64_e32 v[6:7], v[6:7], v[6:7]
	s_delay_alu instid0(VALU_DEP_1)
	v_max_num_f64_e32 v[2:3], v[6:7], v[2:3]
	ds_store_b64 v0, v[2:3]
.LBB10_8:
	s_or_b32 exec_lo, exec_lo, s2
	s_delay_alu instid0(SALU_CYCLE_1)
	s_mov_b32 s2, exec_lo
	s_wait_dscnt 0x0
	s_barrier_signal -1
	s_barrier_wait -1
	v_cmpx_gt_u32_e32 32, v4
	s_cbranch_execz .LBB10_10
; %bb.9:
	ds_load_2addr_b64 v[6:9], v0 offset1:32
	s_wait_dscnt 0x0
	v_max_num_f64_e32 v[2:3], v[8:9], v[8:9]
	v_max_num_f64_e32 v[6:7], v[6:7], v[6:7]
	s_delay_alu instid0(VALU_DEP_1)
	v_max_num_f64_e32 v[2:3], v[6:7], v[2:3]
	ds_store_b64 v0, v[2:3]
.LBB10_10:
	s_or_b32 exec_lo, exec_lo, s2
	s_delay_alu instid0(SALU_CYCLE_1)
	s_mov_b32 s2, exec_lo
	s_wait_dscnt 0x0
	s_barrier_signal -1
	s_barrier_wait -1
	v_cmpx_gt_u32_e32 16, v4
	s_cbranch_execz .LBB10_12
; %bb.11:
	ds_load_2addr_b64 v[6:9], v0 offset1:16
	s_wait_dscnt 0x0
	v_max_num_f64_e32 v[2:3], v[8:9], v[8:9]
	v_max_num_f64_e32 v[6:7], v[6:7], v[6:7]
	s_delay_alu instid0(VALU_DEP_1)
	v_max_num_f64_e32 v[2:3], v[6:7], v[2:3]
	ds_store_b64 v0, v[2:3]
.LBB10_12:
	;; [unrolled: 17-line block ×5, first 2 shown]
	s_or_b32 exec_lo, exec_lo, s2
	v_cmp_eq_u32_e32 vcc_lo, 0, v4
	s_wait_dscnt 0x0
	s_barrier_signal -1
	s_barrier_wait -1
	s_and_saveexec_b32 s2, vcc_lo
	s_cbranch_execz .LBB10_20
; %bb.19:
	ds_load_2addr_b64 v[2:5], v0 offset1:1
	s_wait_dscnt 0x0
	v_max_num_f64_e32 v[4:5], v[4:5], v[4:5]
	v_max_num_f64_e32 v[2:3], v[2:3], v[2:3]
	s_delay_alu instid0(VALU_DEP_1)
	v_max_num_f64_e32 v[2:3], v[2:3], v[4:5]
	ds_store_b64 v0, v[2:3]
.LBB10_20:
	s_or_b32 exec_lo, exec_lo, s2
	s_wait_dscnt 0x0
	s_barrier_signal -1
	s_barrier_wait -1
	s_and_saveexec_b32 s2, vcc_lo
	s_cbranch_execz .LBB10_22
; %bb.21:
	s_mul_i32 s2, s13, s14
	s_load_b64 s[0:1], s[0:1], 0x28
	s_add_co_i32 s2, s2, s12
	s_delay_alu instid0(SALU_CYCLE_1)
	v_dual_mov_b32 v0, 0 :: v_dual_mov_b32 v2, s2
	ds_load_b64 v[0:1], v0
	s_wait_dscnt 0x0
	s_wait_kmcnt 0x0
	global_store_b64 v2, v[0:1], s[0:1] scale_offset
.LBB10_22:
	s_endpgm
	.section	.rodata,"a",@progbits
	.p2align	6, 0x0
	.amdhsa_kernel _Z11calculate_vdPKdS0_S0_PdS1_
		.amdhsa_group_segment_fixed_size 1024
		.amdhsa_private_segment_fixed_size 0
		.amdhsa_kernarg_size 304
		.amdhsa_user_sgpr_count 2
		.amdhsa_user_sgpr_dispatch_ptr 0
		.amdhsa_user_sgpr_queue_ptr 0
		.amdhsa_user_sgpr_kernarg_segment_ptr 1
		.amdhsa_user_sgpr_dispatch_id 0
		.amdhsa_user_sgpr_kernarg_preload_length 0
		.amdhsa_user_sgpr_kernarg_preload_offset 0
		.amdhsa_user_sgpr_private_segment_size 0
		.amdhsa_wavefront_size32 1
		.amdhsa_uses_dynamic_stack 0
		.amdhsa_enable_private_segment 0
		.amdhsa_system_sgpr_workgroup_id_x 1
		.amdhsa_system_sgpr_workgroup_id_y 1
		.amdhsa_system_sgpr_workgroup_id_z 0
		.amdhsa_system_sgpr_workgroup_info 0
		.amdhsa_system_vgpr_workitem_id 1
		.amdhsa_next_free_vgpr 18
		.amdhsa_next_free_sgpr 17
		.amdhsa_named_barrier_count 0
		.amdhsa_reserve_vcc 1
		.amdhsa_float_round_mode_32 0
		.amdhsa_float_round_mode_16_64 0
		.amdhsa_float_denorm_mode_32 3
		.amdhsa_float_denorm_mode_16_64 3
		.amdhsa_fp16_overflow 0
		.amdhsa_memory_ordered 1
		.amdhsa_forward_progress 1
		.amdhsa_inst_pref_size 11
		.amdhsa_round_robin_scheduling 0
		.amdhsa_exception_fp_ieee_invalid_op 0
		.amdhsa_exception_fp_denorm_src 0
		.amdhsa_exception_fp_ieee_div_zero 0
		.amdhsa_exception_fp_ieee_overflow 0
		.amdhsa_exception_fp_ieee_underflow 0
		.amdhsa_exception_fp_ieee_inexact 0
		.amdhsa_exception_int_div_zero 0
	.end_amdhsa_kernel
	.text
.Lfunc_end10:
	.size	_Z11calculate_vdPKdS0_S0_PdS1_, .Lfunc_end10-_Z11calculate_vdPKdS0_S0_PdS1_
                                        ; -- End function
	.set _Z11calculate_vdPKdS0_S0_PdS1_.num_vgpr, 18
	.set _Z11calculate_vdPKdS0_S0_PdS1_.num_agpr, 0
	.set _Z11calculate_vdPKdS0_S0_PdS1_.numbered_sgpr, 17
	.set _Z11calculate_vdPKdS0_S0_PdS1_.num_named_barrier, 0
	.set _Z11calculate_vdPKdS0_S0_PdS1_.private_seg_size, 0
	.set _Z11calculate_vdPKdS0_S0_PdS1_.uses_vcc, 1
	.set _Z11calculate_vdPKdS0_S0_PdS1_.uses_flat_scratch, 0
	.set _Z11calculate_vdPKdS0_S0_PdS1_.has_dyn_sized_stack, 0
	.set _Z11calculate_vdPKdS0_S0_PdS1_.has_recursion, 0
	.set _Z11calculate_vdPKdS0_S0_PdS1_.has_indirect_call, 0
	.section	.AMDGPU.csdata,"",@progbits
; Kernel info:
; codeLenInByte = 1384
; TotalNumSgprs: 19
; NumVgprs: 18
; ScratchSize: 0
; MemoryBound: 0
; FloatMode: 240
; IeeeMode: 1
; LDSByteSize: 1024 bytes/workgroup (compile time only)
; SGPRBlocks: 0
; VGPRBlocks: 1
; NumSGPRsForWavesPerEU: 19
; NumVGPRsForWavesPerEU: 18
; NamedBarCnt: 0
; Occupancy: 16
; WaveLimiterHint : 1
; COMPUTE_PGM_RSRC2:SCRATCH_EN: 0
; COMPUTE_PGM_RSRC2:USER_SGPR: 2
; COMPUTE_PGM_RSRC2:TRAP_HANDLER: 0
; COMPUTE_PGM_RSRC2:TGID_X_EN: 1
; COMPUTE_PGM_RSRC2:TGID_Y_EN: 1
; COMPUTE_PGM_RSRC2:TGID_Z_EN: 0
; COMPUTE_PGM_RSRC2:TIDIG_COMP_CNT: 1
	.text
	.p2alignl 7, 3214868480
	.fill 96, 4, 3214868480
	.section	.AMDGPU.gpr_maximums,"",@progbits
	.set amdgpu.max_num_vgpr, 0
	.set amdgpu.max_num_agpr, 0
	.set amdgpu.max_num_sgpr, 0
	.text
	.type	__hip_cuid_f5fc8fb8ceef53df,@object ; @__hip_cuid_f5fc8fb8ceef53df
	.section	.bss,"aw",@nobits
	.globl	__hip_cuid_f5fc8fb8ceef53df
__hip_cuid_f5fc8fb8ceef53df:
	.byte	0                               ; 0x0
	.size	__hip_cuid_f5fc8fb8ceef53df, 1

	.ident	"AMD clang version 22.0.0git (https://github.com/RadeonOpenCompute/llvm-project roc-7.2.4 26084 f58b06dce1f9c15707c5f808fd002e18c2accf7e)"
	.section	".note.GNU-stack","",@progbits
	.addrsig
	.addrsig_sym __hip_cuid_f5fc8fb8ceef53df
	.amdgpu_metadata
---
amdhsa.kernels:
  - .args:
      - .address_space:  global
        .offset:         0
        .size:           8
        .value_kind:     global_buffer
      - .address_space:  global
        .offset:         8
        .size:           8
        .value_kind:     global_buffer
      - .offset:         16
        .size:           4
        .value_kind:     hidden_block_count_x
      - .offset:         20
        .size:           4
        .value_kind:     hidden_block_count_y
      - .offset:         24
        .size:           4
        .value_kind:     hidden_block_count_z
      - .offset:         28
        .size:           2
        .value_kind:     hidden_group_size_x
      - .offset:         30
        .size:           2
        .value_kind:     hidden_group_size_y
      - .offset:         32
        .size:           2
        .value_kind:     hidden_group_size_z
      - .offset:         34
        .size:           2
        .value_kind:     hidden_remainder_x
      - .offset:         36
        .size:           2
        .value_kind:     hidden_remainder_y
      - .offset:         38
        .size:           2
        .value_kind:     hidden_remainder_z
      - .offset:         56
        .size:           8
        .value_kind:     hidden_global_offset_x
      - .offset:         64
        .size:           8
        .value_kind:     hidden_global_offset_y
      - .offset:         72
        .size:           8
        .value_kind:     hidden_global_offset_z
      - .offset:         80
        .size:           2
        .value_kind:     hidden_grid_dims
    .group_segment_fixed_size: 0
    .kernarg_segment_align: 8
    .kernarg_segment_size: 272
    .language:       OpenCL C
    .language_version:
      - 2
      - 0
    .max_flat_workgroup_size: 1024
    .name:           _Z7set_BCsPdS_
    .private_segment_fixed_size: 0
    .sgpr_count:     8
    .sgpr_spill_count: 0
    .symbol:         _Z7set_BCsPdS_.kd
    .uniform_work_group_size: 1
    .uses_dynamic_stack: false
    .vgpr_count:     18
    .vgpr_spill_count: 0
    .wavefront_size: 32
  - .args:
      - .offset:         0
        .size:           8
        .value_kind:     by_value
      - .actual_access:  read_only
        .address_space:  global
        .offset:         8
        .size:           8
        .value_kind:     global_buffer
      - .actual_access:  read_only
        .address_space:  global
        .offset:         16
        .size:           8
        .value_kind:     global_buffer
      - .actual_access:  write_only
        .address_space:  global
        .offset:         24
        .size:           8
        .value_kind:     global_buffer
      - .offset:         32
        .size:           4
        .value_kind:     hidden_block_count_x
      - .offset:         36
        .size:           4
        .value_kind:     hidden_block_count_y
      - .offset:         40
        .size:           4
        .value_kind:     hidden_block_count_z
      - .offset:         44
        .size:           2
        .value_kind:     hidden_group_size_x
      - .offset:         46
        .size:           2
        .value_kind:     hidden_group_size_y
      - .offset:         48
        .size:           2
        .value_kind:     hidden_group_size_z
      - .offset:         50
        .size:           2
        .value_kind:     hidden_remainder_x
      - .offset:         52
        .size:           2
        .value_kind:     hidden_remainder_y
      - .offset:         54
        .size:           2
        .value_kind:     hidden_remainder_z
      - .offset:         72
        .size:           8
        .value_kind:     hidden_global_offset_x
      - .offset:         80
        .size:           8
        .value_kind:     hidden_global_offset_y
      - .offset:         88
        .size:           8
        .value_kind:     hidden_global_offset_z
      - .offset:         96
        .size:           2
        .value_kind:     hidden_grid_dims
    .group_segment_fixed_size: 0
    .kernarg_segment_align: 8
    .kernarg_segment_size: 288
    .language:       OpenCL C
    .language_version:
      - 2
      - 0
    .max_flat_workgroup_size: 1024
    .name:           _Z11calculate_FdPKdS0_Pd
    .private_segment_fixed_size: 0
    .sgpr_count:     12
    .sgpr_spill_count: 0
    .symbol:         _Z11calculate_FdPKdS0_Pd.kd
    .uniform_work_group_size: 1
    .uses_dynamic_stack: false
    .vgpr_count:     38
    .vgpr_spill_count: 0
    .wavefront_size: 32
  - .args:
      - .offset:         0
        .size:           8
        .value_kind:     by_value
      - .actual_access:  read_only
        .address_space:  global
        .offset:         8
        .size:           8
        .value_kind:     global_buffer
      - .actual_access:  read_only
        .address_space:  global
        .offset:         16
        .size:           8
        .value_kind:     global_buffer
      - .actual_access:  write_only
        .address_space:  global
        .offset:         24
        .size:           8
        .value_kind:     global_buffer
      - .offset:         32
        .size:           4
        .value_kind:     hidden_block_count_x
      - .offset:         36
        .size:           4
        .value_kind:     hidden_block_count_y
      - .offset:         40
        .size:           4
        .value_kind:     hidden_block_count_z
      - .offset:         44
        .size:           2
        .value_kind:     hidden_group_size_x
      - .offset:         46
        .size:           2
        .value_kind:     hidden_group_size_y
      - .offset:         48
        .size:           2
        .value_kind:     hidden_group_size_z
      - .offset:         50
        .size:           2
        .value_kind:     hidden_remainder_x
      - .offset:         52
        .size:           2
        .value_kind:     hidden_remainder_y
      - .offset:         54
        .size:           2
        .value_kind:     hidden_remainder_z
      - .offset:         72
        .size:           8
        .value_kind:     hidden_global_offset_x
      - .offset:         80
        .size:           8
        .value_kind:     hidden_global_offset_y
      - .offset:         88
        .size:           8
        .value_kind:     hidden_global_offset_z
      - .offset:         96
        .size:           2
        .value_kind:     hidden_grid_dims
    .group_segment_fixed_size: 0
    .kernarg_segment_align: 8
    .kernarg_segment_size: 288
    .language:       OpenCL C
    .language_version:
      - 2
      - 0
    .max_flat_workgroup_size: 1024
    .name:           _Z11calculate_GdPKdS0_Pd
    .private_segment_fixed_size: 0
    .sgpr_count:     11
    .sgpr_spill_count: 0
    .symbol:         _Z11calculate_GdPKdS0_Pd.kd
    .uniform_work_group_size: 1
    .uses_dynamic_stack: false
    .vgpr_count:     38
    .vgpr_spill_count: 0
    .wavefront_size: 32
  - .args:
      - .actual_access:  read_only
        .address_space:  global
        .offset:         0
        .size:           8
        .value_kind:     global_buffer
      - .actual_access:  read_only
        .address_space:  global
        .offset:         8
        .size:           8
        .value_kind:     global_buffer
      - .actual_access:  write_only
        .address_space:  global
        .offset:         16
        .size:           8
        .value_kind:     global_buffer
      - .offset:         24
        .size:           4
        .value_kind:     hidden_block_count_x
      - .offset:         28
        .size:           4
        .value_kind:     hidden_block_count_y
      - .offset:         32
        .size:           4
        .value_kind:     hidden_block_count_z
      - .offset:         36
        .size:           2
        .value_kind:     hidden_group_size_x
      - .offset:         38
        .size:           2
        .value_kind:     hidden_group_size_y
      - .offset:         40
        .size:           2
        .value_kind:     hidden_group_size_z
      - .offset:         42
        .size:           2
        .value_kind:     hidden_remainder_x
      - .offset:         44
        .size:           2
        .value_kind:     hidden_remainder_y
      - .offset:         46
        .size:           2
        .value_kind:     hidden_remainder_z
      - .offset:         64
        .size:           8
        .value_kind:     hidden_global_offset_x
      - .offset:         72
        .size:           8
        .value_kind:     hidden_global_offset_y
      - .offset:         80
        .size:           8
        .value_kind:     hidden_global_offset_z
      - .offset:         88
        .size:           2
        .value_kind:     hidden_grid_dims
    .group_segment_fixed_size: 1024
    .kernarg_segment_align: 8
    .kernarg_segment_size: 280
    .language:       OpenCL C
    .language_version:
      - 2
      - 0
    .max_flat_workgroup_size: 1024
    .name:           _Z12sum_pressurePKdS0_Pd
    .private_segment_fixed_size: 0
    .sgpr_count:     14
    .sgpr_spill_count: 0
    .symbol:         _Z12sum_pressurePKdS0_Pd.kd
    .uniform_work_group_size: 1
    .uses_dynamic_stack: false
    .vgpr_count:     6
    .vgpr_spill_count: 0
    .wavefront_size: 32
  - .args:
      - .address_space:  global
        .offset:         0
        .size:           8
        .value_kind:     global_buffer
      - .address_space:  global
        .offset:         8
        .size:           8
        .value_kind:     global_buffer
      - .offset:         16
        .size:           4
        .value_kind:     hidden_block_count_x
      - .offset:         20
        .size:           4
        .value_kind:     hidden_block_count_y
      - .offset:         24
        .size:           4
        .value_kind:     hidden_block_count_z
      - .offset:         28
        .size:           2
        .value_kind:     hidden_group_size_x
      - .offset:         30
        .size:           2
        .value_kind:     hidden_group_size_y
      - .offset:         32
        .size:           2
        .value_kind:     hidden_group_size_z
      - .offset:         34
        .size:           2
        .value_kind:     hidden_remainder_x
      - .offset:         36
        .size:           2
        .value_kind:     hidden_remainder_y
      - .offset:         38
        .size:           2
        .value_kind:     hidden_remainder_z
      - .offset:         56
        .size:           8
        .value_kind:     hidden_global_offset_x
      - .offset:         64
        .size:           8
        .value_kind:     hidden_global_offset_y
      - .offset:         72
        .size:           8
        .value_kind:     hidden_global_offset_z
      - .offset:         80
        .size:           2
        .value_kind:     hidden_grid_dims
    .group_segment_fixed_size: 0
    .kernarg_segment_align: 8
    .kernarg_segment_size: 272
    .language:       OpenCL C
    .language_version:
      - 2
      - 0
    .max_flat_workgroup_size: 1024
    .name:           _Z17set_horz_pres_BCsPdS_
    .private_segment_fixed_size: 0
    .sgpr_count:     6
    .sgpr_spill_count: 0
    .symbol:         _Z17set_horz_pres_BCsPdS_.kd
    .uniform_work_group_size: 1
    .uses_dynamic_stack: false
    .vgpr_count:     12
    .vgpr_spill_count: 0
    .wavefront_size: 32
  - .args:
      - .address_space:  global
        .offset:         0
        .size:           8
        .value_kind:     global_buffer
      - .address_space:  global
        .offset:         8
        .size:           8
        .value_kind:     global_buffer
      - .offset:         16
        .size:           4
        .value_kind:     hidden_block_count_x
      - .offset:         20
        .size:           4
        .value_kind:     hidden_block_count_y
      - .offset:         24
        .size:           4
        .value_kind:     hidden_block_count_z
      - .offset:         28
        .size:           2
        .value_kind:     hidden_group_size_x
      - .offset:         30
        .size:           2
        .value_kind:     hidden_group_size_y
      - .offset:         32
        .size:           2
        .value_kind:     hidden_group_size_z
      - .offset:         34
        .size:           2
        .value_kind:     hidden_remainder_x
      - .offset:         36
        .size:           2
        .value_kind:     hidden_remainder_y
      - .offset:         38
        .size:           2
        .value_kind:     hidden_remainder_z
      - .offset:         56
        .size:           8
        .value_kind:     hidden_global_offset_x
      - .offset:         64
        .size:           8
        .value_kind:     hidden_global_offset_y
      - .offset:         72
        .size:           8
        .value_kind:     hidden_global_offset_z
      - .offset:         80
        .size:           2
        .value_kind:     hidden_grid_dims
    .group_segment_fixed_size: 0
    .kernarg_segment_align: 8
    .kernarg_segment_size: 272
    .language:       OpenCL C
    .language_version:
      - 2
      - 0
    .max_flat_workgroup_size: 1024
    .name:           _Z17set_vert_pres_BCsPdS_
    .private_segment_fixed_size: 0
    .sgpr_count:     8
    .sgpr_spill_count: 0
    .symbol:         _Z17set_vert_pres_BCsPdS_.kd
    .uniform_work_group_size: 1
    .uses_dynamic_stack: false
    .vgpr_count:     9
    .vgpr_spill_count: 0
    .wavefront_size: 32
  - .args:
      - .offset:         0
        .size:           8
        .value_kind:     by_value
      - .actual_access:  read_only
        .address_space:  global
        .offset:         8
        .size:           8
        .value_kind:     global_buffer
      - .actual_access:  read_only
        .address_space:  global
        .offset:         16
        .size:           8
        .value_kind:     global_buffer
      - .actual_access:  read_only
        .address_space:  global
        .offset:         24
        .size:           8
        .value_kind:     global_buffer
      - .address_space:  global
        .offset:         32
        .size:           8
        .value_kind:     global_buffer
      - .offset:         40
        .size:           4
        .value_kind:     hidden_block_count_x
      - .offset:         44
        .size:           4
        .value_kind:     hidden_block_count_y
      - .offset:         48
        .size:           4
        .value_kind:     hidden_block_count_z
      - .offset:         52
        .size:           2
        .value_kind:     hidden_group_size_x
      - .offset:         54
        .size:           2
        .value_kind:     hidden_group_size_y
      - .offset:         56
        .size:           2
        .value_kind:     hidden_group_size_z
      - .offset:         58
        .size:           2
        .value_kind:     hidden_remainder_x
      - .offset:         60
        .size:           2
        .value_kind:     hidden_remainder_y
      - .offset:         62
        .size:           2
        .value_kind:     hidden_remainder_z
      - .offset:         80
        .size:           8
        .value_kind:     hidden_global_offset_x
      - .offset:         88
        .size:           8
        .value_kind:     hidden_global_offset_y
      - .offset:         96
        .size:           8
        .value_kind:     hidden_global_offset_z
      - .offset:         104
        .size:           2
        .value_kind:     hidden_grid_dims
    .group_segment_fixed_size: 0
    .kernarg_segment_align: 8
    .kernarg_segment_size: 296
    .language:       OpenCL C
    .language_version:
      - 2
      - 0
    .max_flat_workgroup_size: 1024
    .name:           _Z10red_kerneldPKdS0_S0_Pd
    .private_segment_fixed_size: 0
    .sgpr_count:     14
    .sgpr_spill_count: 0
    .symbol:         _Z10red_kerneldPKdS0_S0_Pd.kd
    .uniform_work_group_size: 1
    .uses_dynamic_stack: false
    .vgpr_count:     21
    .vgpr_spill_count: 0
    .wavefront_size: 32
  - .args:
      - .offset:         0
        .size:           8
        .value_kind:     by_value
      - .actual_access:  read_only
        .address_space:  global
        .offset:         8
        .size:           8
        .value_kind:     global_buffer
      - .actual_access:  read_only
        .address_space:  global
        .offset:         16
        .size:           8
        .value_kind:     global_buffer
      - .actual_access:  read_only
        .address_space:  global
        .offset:         24
        .size:           8
        .value_kind:     global_buffer
      - .address_space:  global
        .offset:         32
        .size:           8
        .value_kind:     global_buffer
      - .offset:         40
        .size:           4
        .value_kind:     hidden_block_count_x
      - .offset:         44
        .size:           4
        .value_kind:     hidden_block_count_y
      - .offset:         48
        .size:           4
        .value_kind:     hidden_block_count_z
      - .offset:         52
        .size:           2
        .value_kind:     hidden_group_size_x
      - .offset:         54
        .size:           2
        .value_kind:     hidden_group_size_y
      - .offset:         56
        .size:           2
        .value_kind:     hidden_group_size_z
      - .offset:         58
        .size:           2
        .value_kind:     hidden_remainder_x
      - .offset:         60
        .size:           2
        .value_kind:     hidden_remainder_y
      - .offset:         62
        .size:           2
        .value_kind:     hidden_remainder_z
      - .offset:         80
        .size:           8
        .value_kind:     hidden_global_offset_x
      - .offset:         88
        .size:           8
        .value_kind:     hidden_global_offset_y
      - .offset:         96
        .size:           8
        .value_kind:     hidden_global_offset_z
      - .offset:         104
        .size:           2
        .value_kind:     hidden_grid_dims
    .group_segment_fixed_size: 0
    .kernarg_segment_align: 8
    .kernarg_segment_size: 296
    .language:       OpenCL C
    .language_version:
      - 2
      - 0
    .max_flat_workgroup_size: 1024
    .name:           _Z12black_kerneldPKdS0_S0_Pd
    .private_segment_fixed_size: 0
    .sgpr_count:     14
    .sgpr_spill_count: 0
    .symbol:         _Z12black_kerneldPKdS0_S0_Pd.kd
    .uniform_work_group_size: 1
    .uses_dynamic_stack: false
    .vgpr_count:     21
    .vgpr_spill_count: 0
    .wavefront_size: 32
  - .args:
      - .offset:         0
        .size:           8
        .value_kind:     by_value
      - .actual_access:  read_only
        .address_space:  global
        .offset:         8
        .size:           8
        .value_kind:     global_buffer
      - .actual_access:  read_only
        .address_space:  global
        .offset:         16
        .size:           8
        .value_kind:     global_buffer
      - .actual_access:  read_only
        .address_space:  global
        .offset:         24
        .size:           8
        .value_kind:     global_buffer
      - .actual_access:  read_only
        .address_space:  global
        .offset:         32
        .size:           8
        .value_kind:     global_buffer
      - .actual_access:  write_only
        .address_space:  global
        .offset:         40
        .size:           8
        .value_kind:     global_buffer
      - .offset:         48
        .size:           4
        .value_kind:     hidden_block_count_x
      - .offset:         52
        .size:           4
        .value_kind:     hidden_block_count_y
      - .offset:         56
        .size:           4
        .value_kind:     hidden_block_count_z
      - .offset:         60
        .size:           2
        .value_kind:     hidden_group_size_x
      - .offset:         62
        .size:           2
        .value_kind:     hidden_group_size_y
      - .offset:         64
        .size:           2
        .value_kind:     hidden_group_size_z
      - .offset:         66
        .size:           2
        .value_kind:     hidden_remainder_x
      - .offset:         68
        .size:           2
        .value_kind:     hidden_remainder_y
      - .offset:         70
        .size:           2
        .value_kind:     hidden_remainder_z
      - .offset:         88
        .size:           8
        .value_kind:     hidden_global_offset_x
      - .offset:         96
        .size:           8
        .value_kind:     hidden_global_offset_y
      - .offset:         104
        .size:           8
        .value_kind:     hidden_global_offset_z
      - .offset:         112
        .size:           2
        .value_kind:     hidden_grid_dims
    .group_segment_fixed_size: 1024
    .kernarg_segment_align: 8
    .kernarg_segment_size: 304
    .language:       OpenCL C
    .language_version:
      - 2
      - 0
    .max_flat_workgroup_size: 1024
    .name:           _Z13calc_residualdPKdS0_S0_S0_Pd
    .private_segment_fixed_size: 0
    .sgpr_count:     15
    .sgpr_spill_count: 0
    .symbol:         _Z13calc_residualdPKdS0_S0_S0_Pd.kd
    .uniform_work_group_size: 1
    .uses_dynamic_stack: false
    .vgpr_count:     42
    .vgpr_spill_count: 0
    .wavefront_size: 32
  - .args:
      - .offset:         0
        .size:           8
        .value_kind:     by_value
      - .actual_access:  read_only
        .address_space:  global
        .offset:         8
        .size:           8
        .value_kind:     global_buffer
      - .actual_access:  read_only
        .address_space:  global
        .offset:         16
        .size:           8
        .value_kind:     global_buffer
      - .actual_access:  read_only
        .address_space:  global
        .offset:         24
        .size:           8
        .value_kind:     global_buffer
      - .address_space:  global
        .offset:         32
        .size:           8
        .value_kind:     global_buffer
      - .actual_access:  write_only
        .address_space:  global
        .offset:         40
        .size:           8
        .value_kind:     global_buffer
      - .offset:         48
        .size:           4
        .value_kind:     hidden_block_count_x
      - .offset:         52
        .size:           4
        .value_kind:     hidden_block_count_y
      - .offset:         56
        .size:           4
        .value_kind:     hidden_block_count_z
      - .offset:         60
        .size:           2
        .value_kind:     hidden_group_size_x
      - .offset:         62
        .size:           2
        .value_kind:     hidden_group_size_y
      - .offset:         64
        .size:           2
        .value_kind:     hidden_group_size_z
      - .offset:         66
        .size:           2
        .value_kind:     hidden_remainder_x
      - .offset:         68
        .size:           2
        .value_kind:     hidden_remainder_y
      - .offset:         70
        .size:           2
        .value_kind:     hidden_remainder_z
      - .offset:         88
        .size:           8
        .value_kind:     hidden_global_offset_x
      - .offset:         96
        .size:           8
        .value_kind:     hidden_global_offset_y
      - .offset:         104
        .size:           8
        .value_kind:     hidden_global_offset_z
      - .offset:         112
        .size:           2
        .value_kind:     hidden_grid_dims
    .group_segment_fixed_size: 1024
    .kernarg_segment_align: 8
    .kernarg_segment_size: 304
    .language:       OpenCL C
    .language_version:
      - 2
      - 0
    .max_flat_workgroup_size: 1024
    .name:           _Z11calculate_udPKdS0_S0_PdS1_
    .private_segment_fixed_size: 0
    .sgpr_count:     18
    .sgpr_spill_count: 0
    .symbol:         _Z11calculate_udPKdS0_S0_PdS1_.kd
    .uniform_work_group_size: 1
    .uses_dynamic_stack: false
    .vgpr_count:     18
    .vgpr_spill_count: 0
    .wavefront_size: 32
  - .args:
      - .offset:         0
        .size:           8
        .value_kind:     by_value
      - .actual_access:  read_only
        .address_space:  global
        .offset:         8
        .size:           8
        .value_kind:     global_buffer
      - .actual_access:  read_only
        .address_space:  global
        .offset:         16
        .size:           8
        .value_kind:     global_buffer
      - .actual_access:  read_only
        .address_space:  global
        .offset:         24
        .size:           8
        .value_kind:     global_buffer
      - .address_space:  global
        .offset:         32
        .size:           8
        .value_kind:     global_buffer
      - .actual_access:  write_only
        .address_space:  global
        .offset:         40
        .size:           8
        .value_kind:     global_buffer
      - .offset:         48
        .size:           4
        .value_kind:     hidden_block_count_x
      - .offset:         52
        .size:           4
        .value_kind:     hidden_block_count_y
      - .offset:         56
        .size:           4
        .value_kind:     hidden_block_count_z
      - .offset:         60
        .size:           2
        .value_kind:     hidden_group_size_x
      - .offset:         62
        .size:           2
        .value_kind:     hidden_group_size_y
      - .offset:         64
        .size:           2
        .value_kind:     hidden_group_size_z
      - .offset:         66
        .size:           2
        .value_kind:     hidden_remainder_x
      - .offset:         68
        .size:           2
        .value_kind:     hidden_remainder_y
      - .offset:         70
        .size:           2
        .value_kind:     hidden_remainder_z
      - .offset:         88
        .size:           8
        .value_kind:     hidden_global_offset_x
      - .offset:         96
        .size:           8
        .value_kind:     hidden_global_offset_y
      - .offset:         104
        .size:           8
        .value_kind:     hidden_global_offset_z
      - .offset:         112
        .size:           2
        .value_kind:     hidden_grid_dims
    .group_segment_fixed_size: 1024
    .kernarg_segment_align: 8
    .kernarg_segment_size: 304
    .language:       OpenCL C
    .language_version:
      - 2
      - 0
    .max_flat_workgroup_size: 1024
    .name:           _Z11calculate_vdPKdS0_S0_PdS1_
    .private_segment_fixed_size: 0
    .sgpr_count:     19
    .sgpr_spill_count: 0
    .symbol:         _Z11calculate_vdPKdS0_S0_PdS1_.kd
    .uniform_work_group_size: 1
    .uses_dynamic_stack: false
    .vgpr_count:     18
    .vgpr_spill_count: 0
    .wavefront_size: 32
amdhsa.target:   amdgcn-amd-amdhsa--gfx1250
amdhsa.version:
  - 1
  - 2
...

	.end_amdgpu_metadata
